;; amdgpu-corpus repo=triton-lang/triton kind=triton arch=gfx950 opt=O3 lang=triton
	.amdgcn_target "amdgcn-amd-amdhsa--gfx950"
	.amdhsa_code_object_version 5
	.text
	.globl	_attn_bwd                       ; -- Begin function _attn_bwd
	.p2align	8
	.type	_attn_bwd,@function
_attn_bwd:                              ; @_attn_bwd
.Lfunc_begin0:
	.cfi_sections .debug_frame
	.cfi_startproc
; %bb.102:
	.file	1 "/root/src/amdgpu-assembly/repos/triton-lang__triton-aot" "attention_bwd.py"
	.loc	1 126 0 prologue_end            ; attention_bwd.py:126:0
	s_load_dwordx2 s[2:3], s[0:1], 0x0
	s_load_dwordx8 s[4:11], s[0:1], 0x8
	s_load_dwordx4 s[12:15], s[0:1], 0x28
	s_waitcnt lgkmcnt(0)
	s_branch .LBB0_0
	.loc	1 0 0 is_stmt 0                 ; :0:0
.Ltmp0:
	.p2align	8
; %bb.103:
.LBB0_0:
	s_mov_b64 s[18:19], s[4:5]
	s_load_dwordx2 s[4:5], s[0:1], 0x60
	s_load_dwordx4 s[20:23], s[0:1], 0x50
	s_mov_b64 s[24:25], s[6:7]
                                        ; implicit-def: $vgpr254 : SGPR spill to VGPR lane
.Ltmp1:
	.loc	1 103 21 is_stmt 1              ; attention_bwd.py:103:21 @[ attention_bwd.py:253:40 ]
	v_readfirstlane_b32 s33, v0
	v_writelane_b32 v254, s14, 0
.Ltmp2:
	.loc	1 144 55                        ; attention_bwd.py:144:55
	s_waitcnt lgkmcnt(0)
	s_abs_i32 s6, s4
	v_cvt_f32_u32_e32 v1, s6
	v_writelane_b32 v254, s15, 1
	v_writelane_b32 v254, s12, 2
	s_xor_b32 s7, s17, s4
	v_rcp_iflag_f32_e32 v1, v1
	v_writelane_b32 v254, s13, 3
	s_sub_i32 s13, 0, s6
	s_abs_i32 s12, s17
	v_mul_f32_e32 v1, 0x4f7ffffe, v1
	v_cvt_u32_f32_e32 v1, v1
	.loc	1 259 22                        ; attention_bwd.py:259:22
	s_and_b32 s9, s33, 0xc0
	.loc	1 144 55                        ; attention_bwd.py:144:55
	s_ashr_i32 s7, s7, 31
	.loc	1 171 16                        ; attention_bwd.py:171:16
	v_mov_b32_e32 v135, 0xfe
	.loc	1 144 55                        ; attention_bwd.py:144:55
	v_readfirstlane_b32 s14, v1
	s_mul_i32 s13, s13, s14
	s_mul_hi_u32 s13, s14, s13
	s_add_i32 s14, s14, s13
	s_mul_hi_u32 s13, s12, s14
	s_mul_i32 s14, s13, s6
	s_sub_i32 s12, s12, s14
	s_add_i32 s14, s13, 1
	s_sub_i32 s15, s12, s6
	s_cmp_ge_u32 s12, s6
	s_cselect_b32 s13, s14, s13
	s_cselect_b32 s12, s15, s12
	s_add_i32 s14, s13, 1
	s_cmp_ge_u32 s12, s6
	s_cselect_b32 s6, s14, s13
	s_xor_b32 s6, s6, s7
	s_sub_i32 s6, s6, s7
	.loc	1 144 30 is_stmt 0              ; attention_bwd.py:144:30
	s_mul_i32 s4, s6, s4
	s_sub_i32 s4, s17, s4
	.loc	1 144 23                        ; attention_bwd.py:144:23
	s_mul_i32 s4, s4, s21
	.loc	1 144 47                        ; attention_bwd.py:144:47
	s_mul_i32 s6, s6, s20
	.loc	1 144 35                        ; attention_bwd.py:144:35
	s_add_i32 s6, s6, s4
	.loc	1 144 62                        ; attention_bwd.py:144:62
	s_ashr_i32 s7, s6, 31
	.loc	1 148 9 is_stmt 1               ; attention_bwd.py:148:9
	s_lshl_b64 s[34:35], s[6:7], 1
	s_add_u32 s14, s2, s34
	s_addc_u32 s15, s3, s35
	.loc	1 149 9                         ; attention_bwd.py:149:9
	s_add_u32 s38, s18, s34
	v_writelane_b32 v254, s18, 4
	s_addc_u32 s39, s19, s35
	.loc	1 150 9                         ; attention_bwd.py:150:9
	s_add_u32 s80, s24, s34
	v_writelane_b32 v254, s19, 5
	v_writelane_b32 v254, s24, 6
	s_addc_u32 s81, s25, s35
	.loc	1 161 20                        ; attention_bwd.py:161:20
	s_lshl_b32 s6, s16, 7
	v_writelane_b32 v254, s25, 7
	.loc	1 165 36                        ; attention_bwd.py:165:36
	s_bfe_u32 s4, s33, 0x20006
	v_writelane_b32 v254, s6, 8
	s_or_b32 s6, s4, s6
	.loc	1 171 38                        ; attention_bwd.py:171:38
	s_mul_i32 s72, s6, s22
	.loc	1 171 20 is_stmt 0              ; attention_bwd.py:171:20
	s_ashr_i32 s73, s72, 31
	.loc	1 165 36 is_stmt 1              ; attention_bwd.py:165:36
	v_and_b32_e32 v1, 63, v0
	.loc	1 165 23 is_stmt 0              ; attention_bwd.py:165:23
	s_or_b32 s7, s6, 4
	s_or_b32 s12, s6, 8
	;; [unrolled: 1-line block ×29, first 2 shown]
	s_or_b32 vcc_lo, s6, 0x78
	s_or_b32 s16, s6, 0x7c
	.loc	1 171 20 is_stmt 1              ; attention_bwd.py:171:20
	s_lshl_b64 s[76:77], s[72:73], 1
	.loc	1 171 38 is_stmt 0              ; attention_bwd.py:171:38
	s_mul_i32 s74, s7, s22
	.loc	1 171 20                        ; attention_bwd.py:171:20
	s_add_u32 s72, s38, s76
	.loc	1 171 69                        ; attention_bwd.py:171:69
	v_mul_lo_u32 v2, s23, v1
	.loc	1 171 20                        ; attention_bwd.py:171:20
	s_addc_u32 s73, s39, s77
	s_ashr_i32 s75, s74, 31
	.loc	1 171 51                        ; attention_bwd.py:171:51
	v_ashrrev_i32_e32 v3, 31, v2
	.loc	1 171 20                        ; attention_bwd.py:171:20
	s_lshl_b64 s[74:75], s[74:75], 1
	.loc	1 171 51                        ; attention_bwd.py:171:51
	v_lshlrev_b64 v[114:115], 1, v[2:3]
	.loc	1 171 38                        ; attention_bwd.py:171:38
	s_mul_i32 s68, s12, s22
	.loc	1 171 51                        ; attention_bwd.py:171:51
	v_lshl_add_u64 v[4:5], s[72:73], 0, v[114:115]
	.loc	1 171 20                        ; attention_bwd.py:171:20
	s_add_u32 s72, s38, s74
	s_addc_u32 s73, s39, s75
	s_ashr_i32 s69, s68, 31
	s_lshl_b64 s[90:91], s[68:69], 1
	.loc	1 171 38                        ; attention_bwd.py:171:38
	s_mul_i32 s62, s13, s22
	.loc	1 171 20                        ; attention_bwd.py:171:20
	s_add_u32 s68, s38, s90
	s_addc_u32 s69, s39, s91
	s_ashr_i32 s63, s62, 31
	.loc	1 171 51                        ; attention_bwd.py:171:51
	v_lshl_add_u64 v[6:7], s[72:73], 0, v[114:115]
	.loc	1 171 20                        ; attention_bwd.py:171:20
	s_lshl_b64 s[72:73], s[62:63], 1
	.loc	1 171 38                        ; attention_bwd.py:171:38
	s_mul_i32 s56, s18, s22
	.loc	1 171 20                        ; attention_bwd.py:171:20
	s_add_u32 s62, s38, s72
	.loc	1 171 38                        ; attention_bwd.py:171:38
	s_mul_i32 s6, s57, s22
	.loc	1 171 20                        ; attention_bwd.py:171:20
	s_addc_u32 s63, s39, s73
	s_ashr_i32 s57, s56, 31
	.loc	1 171 51                        ; attention_bwd.py:171:51
	v_lshl_add_u64 v[8:9], s[68:69], 0, v[114:115]
	.loc	1 171 20                        ; attention_bwd.py:171:20
	s_lshl_b64 s[68:69], s[56:57], 1
	.loc	1 171 38                        ; attention_bwd.py:171:38
	s_mul_i32 s50, s19, s22
	.loc	1 171 20                        ; attention_bwd.py:171:20
	s_add_u32 s56, s38, s68
	.loc	1 171 38                        ; attention_bwd.py:171:38
	s_mul_i32 s52, s20, s22
	s_mul_i32 s20, s51, s22
	.loc	1 171 20                        ; attention_bwd.py:171:20
	s_addc_u32 s57, s39, s69
	s_ashr_i32 s51, s50, 31
	.loc	1 171 51                        ; attention_bwd.py:171:51
	v_lshl_add_u64 v[10:11], s[62:63], 0, v[114:115]
	.loc	1 171 20                        ; attention_bwd.py:171:20
	s_lshl_b64 s[62:63], s[50:51], 1
	s_add_u32 s50, s38, s62
	.loc	1 171 38                        ; attention_bwd.py:171:38
	s_mul_i32 s18, s53, s22
	.loc	1 171 20                        ; attention_bwd.py:171:20
	s_addc_u32 s51, s39, s63
	s_ashr_i32 s53, s52, 31
	s_lshl_b64 s[84:85], s[52:53], 1
	.loc	1 171 38                        ; attention_bwd.py:171:38
	s_mul_i32 s54, s21, s22
	.loc	1 171 51                        ; attention_bwd.py:171:51
	v_lshl_add_u64 v[16:17], s[50:51], 0, v[114:115]
	.loc	1 171 20                        ; attention_bwd.py:171:20
	s_add_u32 s50, s38, s84
	.loc	1 171 38                        ; attention_bwd.py:171:38
	s_mul_i32 s12, s55, s22
	.loc	1 171 20                        ; attention_bwd.py:171:20
	s_addc_u32 s51, s39, s85
	s_ashr_i32 s55, s54, 31
	s_lshl_b64 s[82:83], s[54:55], 1
	.loc	1 171 38                        ; attention_bwd.py:171:38
	s_mul_i32 s48, s24, s22
	.loc	1 171 51                        ; attention_bwd.py:171:51
	v_lshl_add_u64 v[14:15], s[50:51], 0, v[114:115]
	.loc	1 171 20                        ; attention_bwd.py:171:20
	s_add_u32 s50, s38, s82
	.loc	1 171 38                        ; attention_bwd.py:171:38
	s_mul_i32 s24, s49, s22
	.loc	1 171 20                        ; attention_bwd.py:171:20
	s_addc_u32 s51, s39, s83
	s_ashr_i32 s49, s48, 31
	s_lshl_b64 s[36:37], s[48:49], 1
	.loc	1 171 38                        ; attention_bwd.py:171:38
	s_mul_i32 s58, s25, s22
	.loc	1 171 20                        ; attention_bwd.py:171:20
	s_add_u32 s48, s38, s36
	s_addc_u32 s49, s39, s37
	s_ashr_i32 s59, s58, 31
	s_lshl_b64 s[58:59], s[58:59], 1
	.loc	1 171 38                        ; attention_bwd.py:171:38
	s_mul_i32 s60, s26, s22
	.loc	1 171 51                        ; attention_bwd.py:171:51
	v_lshl_add_u64 v[20:21], s[48:49], 0, v[114:115]
	.loc	1 171 20                        ; attention_bwd.py:171:20
	s_add_u32 s48, s38, s58
	s_addc_u32 s49, s39, s59
	s_ashr_i32 s61, s60, 31
	s_lshl_b64 s[60:61], s[60:61], 1
	.loc	1 171 38                        ; attention_bwd.py:171:38
	s_mul_i32 s46, s27, s22
	.loc	1 171 51                        ; attention_bwd.py:171:51
	v_lshl_add_u64 v[22:23], s[48:49], 0, v[114:115]
	.loc	1 171 20                        ; attention_bwd.py:171:20
	s_add_u32 s48, s38, s60
	.loc	1 171 38                        ; attention_bwd.py:171:38
	s_mul_i32 s26, s47, s22
	.loc	1 171 20                        ; attention_bwd.py:171:20
	s_addc_u32 s49, s39, s61
	s_ashr_i32 s47, s46, 31
	s_lshl_b64 s[86:87], s[46:47], 1
	.loc	1 171 38                        ; attention_bwd.py:171:38
	s_mul_i32 s64, s28, s22
	.loc	1 171 20                        ; attention_bwd.py:171:20
	s_add_u32 s46, s38, s86
	s_addc_u32 s47, s39, s87
	s_ashr_i32 s65, s64, 31
	s_lshl_b64 s[64:65], s[64:65], 1
	.loc	1 171 38                        ; attention_bwd.py:171:38
	s_mul_i32 s66, s29, s22
	.loc	1 171 51                        ; attention_bwd.py:171:51
	v_lshl_add_u64 v[26:27], s[46:47], 0, v[114:115]
	.loc	1 171 20                        ; attention_bwd.py:171:20
	s_add_u32 s46, s38, s64
	;; [unrolled: 28-line block ×3, first 2 shown]
	.loc	1 171 38                        ; attention_bwd.py:171:38
	s_mul_i32 s30, s43, s22
	.loc	1 171 20                        ; attention_bwd.py:171:20
	s_addc_u32 s45, s39, s71
	s_ashr_i32 s43, s42, 31
	.loc	1 171 51                        ; attention_bwd.py:171:51
	v_lshl_add_u64 v[30:31], s[46:47], 0, v[114:115]
	.loc	1 171 20                        ; attention_bwd.py:171:20
	s_lshl_b64 s[46:47], s[42:43], 1
	.loc	1 171 38                        ; attention_bwd.py:171:38
	s_mul_i32 s40, s41, s22
	.loc	1 171 20                        ; attention_bwd.py:171:20
	s_add_u32 s42, s38, s46
	s_addc_u32 s43, s39, s47
	s_ashr_i32 s41, s40, 31
	.loc	1 171 51                        ; attention_bwd.py:171:51
	v_lshl_add_u64 v[34:35], s[44:45], 0, v[114:115]
	.loc	1 171 20                        ; attention_bwd.py:171:20
	s_lshl_b64 s[44:45], s[40:41], 1
	s_add_u32 s40, s38, s44
	s_addc_u32 s41, s39, s45
	s_ashr_i32 s31, s30, 31
	.loc	1 171 51                        ; attention_bwd.py:171:51
	v_lshl_add_u64 v[36:37], s[42:43], 0, v[114:115]
	.loc	1 171 20                        ; attention_bwd.py:171:20
	s_lshl_b64 s[42:43], s[30:31], 1
	;; [unrolled: 7-line block ×4, first 2 shown]
	s_add_u32 s26, s38, s30
	s_addc_u32 s27, s39, s31
	s_ashr_i32 s25, s24, 31
	s_lshl_b64 s[78:79], s[24:25], 1
	s_add_u32 s24, s38, s78
	s_addc_u32 s25, s39, s79
	s_ashr_i32 s21, s20, 31
	.loc	1 171 51                        ; attention_bwd.py:171:51
	v_lshl_add_u64 v[44:45], s[26:27], 0, v[114:115]
	.loc	1 171 20                        ; attention_bwd.py:171:20
	s_lshl_b64 s[26:27], s[20:21], 1
	s_add_u32 s20, s38, s26
	s_addc_u32 s21, s39, s27
	s_ashr_i32 s19, s18, 31
	.loc	1 171 51                        ; attention_bwd.py:171:51
	v_lshl_add_u64 v[46:47], s[24:25], 0, v[114:115]
	.loc	1 171 20                        ; attention_bwd.py:171:20
	;; [unrolled: 7-line block ×4, first 2 shown]
	s_lshl_b64 s[18:19], s[6:7], 1
	s_add_u32 s6, s38, s18
	s_addc_u32 s7, s39, s19
	.loc	1 171 51                        ; attention_bwd.py:171:51
	v_lshl_add_u64 v[54:55], s[6:7], 0, v[114:115]
	.loc	1 171 38                        ; attention_bwd.py:171:38
	s_mul_i32 s6, s92, s22
	.loc	1 171 20                        ; attention_bwd.py:171:20
	s_ashr_i32 s7, s6, 31
	.loc	1 171 51                        ; attention_bwd.py:171:51
	v_lshl_add_u64 v[18:19], s[50:51], 0, v[114:115]
	.loc	1 171 20                        ; attention_bwd.py:171:20
	s_lshl_b64 s[50:51], s[6:7], 1
	s_add_u32 s6, s38, s50
	s_addc_u32 s7, s39, s51
	.loc	1 171 51                        ; attention_bwd.py:171:51
	v_lshl_add_u64 v[56:57], s[6:7], 0, v[114:115]
	.loc	1 171 38                        ; attention_bwd.py:171:38
	s_mul_i32 s6, s94, s22
	.loc	1 171 20                        ; attention_bwd.py:171:20
	s_ashr_i32 s7, s6, 31
	s_lshl_b64 s[52:53], s[6:7], 1
	s_add_u32 s6, s38, s52
	s_addc_u32 s7, s39, s53
	.loc	1 171 51                        ; attention_bwd.py:171:51
	v_lshl_add_u64 v[58:59], s[6:7], 0, v[114:115]
	.loc	1 171 38                        ; attention_bwd.py:171:38
	s_mul_i32 s6, s96, s22
	.loc	1 171 20                        ; attention_bwd.py:171:20
	s_ashr_i32 s7, s6, 31
	;; [unrolled: 9-line block ×3, first 2 shown]
	.loc	1 171 51                        ; attention_bwd.py:171:51
	v_lshl_add_u64 v[12:13], s[56:57], 0, v[114:115]
	.loc	1 171 20                        ; attention_bwd.py:171:20
	s_lshl_b64 s[56:57], s[6:7], 1
	s_add_u32 s6, s38, s56
	s_addc_u32 s7, s39, s57
	.loc	1 171 51                        ; attention_bwd.py:171:51
	v_lshl_add_u64 v[62:63], s[6:7], 0, v[114:115]
	.loc	1 171 38                        ; attention_bwd.py:171:38
	s_mul_i32 s6, vcc_lo, s22
	.loc	1 171 20                        ; attention_bwd.py:171:20
	s_ashr_i32 s7, s6, 31
	s_lshl_b64 s[98:99], s[6:7], 1
	s_add_u32 s6, s38, s98
	s_addc_u32 s7, s39, s99
	.loc	1 171 51                        ; attention_bwd.py:171:51
	v_lshl_add_u64 v[64:65], s[6:7], 0, v[114:115]
	.loc	1 171 38                        ; attention_bwd.py:171:38
	s_mul_i32 s6, s16, s22
	.loc	1 171 20                        ; attention_bwd.py:171:20
	s_ashr_i32 s7, s6, 31
	s_lshl_b64 vcc, s[6:7], 1
	s_add_u32 s6, s38, vcc_lo
	s_addc_u32 s7, s39, vcc_hi
	.loc	1 171 51                        ; attention_bwd.py:171:51
	v_lshl_add_u64 v[38:39], s[40:41], 0, v[114:115]
	v_lshl_add_u64 v[48:49], s[20:21], 0, v[114:115]
	v_lshl_add_u64 v[52:53], s[12:13], 0, v[114:115]
	v_lshl_add_u64 v[66:67], s[6:7], 0, v[114:115]
	.loc	1 171 16                        ; attention_bwd.py:171:16
	global_load_ushort v4, v[4:5], off
	s_nop 0
	global_load_ushort v5, v[12:13], off
	s_nop 0
	global_load_ushort v12, v[20:21], off
	global_load_ushort v13, v[28:29], off
	s_nop 0
	global_load_ushort v20, v[36:37], off
	global_load_ushort v21, v[44:45], off
	global_load_ushort v28, v[52:53], off
	global_load_ushort v29, v[60:61], off
	s_nop 0
	global_load_ushort v6, v[6:7], off
	s_nop 0
	global_load_ushort v7, v[16:17], off
	s_nop 0
	global_load_ushort v16, v[22:23], off
	global_load_ushort v17, v[30:31], off
	s_nop 0
	global_load_ushort v22, v[38:39], off
	global_load_ushort v23, v[46:47], off
	global_load_ushort v30, v[54:55], off
	global_load_ushort v31, v[62:63], off
	s_nop 0
	;; [unrolled: 12-line block ×3, first 2 shown]
	global_load_ushort v10, v[10:11], off
	s_nop 0
	global_load_ushort v11, v[18:19], off
	s_nop 0
	global_load_ushort v18, v[26:27], off
	global_load_ushort v19, v[34:35], off
	s_nop 0
	global_load_ushort v26, v[42:43], off
	global_load_ushort v27, v[50:51], off
	;; [unrolled: 1-line block ×4, first 2 shown]
	s_bfe_i32 s6, s33, 0x10007
	s_and_b32 s16, s6, 0x110
	.loc	1 172 20 is_stmt 1              ; attention_bwd.py:172:20
	s_add_u32 s6, s80, s76
	s_addc_u32 s7, s81, s77
	.loc	1 172 51 is_stmt 0              ; attention_bwd.py:172:51
	v_lshl_add_u64 v[88:89], s[6:7], 0, v[114:115]
	.loc	1 172 20                        ; attention_bwd.py:172:20
	s_add_u32 s6, s80, s74
	s_addc_u32 s7, s81, s75
	.loc	1 172 51                        ; attention_bwd.py:172:51
	v_lshl_add_u64 v[72:73], s[6:7], 0, v[114:115]
	.loc	1 172 20                        ; attention_bwd.py:172:20
	s_add_u32 s6, s80, s90
	s_addc_u32 s7, s81, s91
	.loc	1 172 51                        ; attention_bwd.py:172:51
	;; [unrolled: 5-line block ×21, first 2 shown]
	v_lshl_add_u64 v[112:113], s[6:7], 0, v[114:115]
	.loc	1 172 20                        ; attention_bwd.py:172:20
	s_add_u32 s6, s80, s26
	v_writelane_b32 v254, s26, 10
	s_addc_u32 s7, s81, s27
	.loc	1 172 51                        ; attention_bwd.py:172:51
	v_lshl_add_u64 v[108:109], s[6:7], 0, v[114:115]
	v_writelane_b32 v254, s27, 11
	.loc	1 172 20                        ; attention_bwd.py:172:20
	s_add_u32 s6, s80, s24
	v_writelane_b32 v254, s24, 12
	s_addc_u32 s7, s81, s25
	.loc	1 172 51                        ; attention_bwd.py:172:51
	v_lshl_add_u64 v[106:107], s[6:7], 0, v[114:115]
	v_writelane_b32 v254, s25, 13
	;; [unrolled: 7-line block ×6, first 2 shown]
	.loc	1 172 20                        ; attention_bwd.py:172:20
	s_add_u32 s6, s80, s54
	.loc	1 165 36 is_stmt 1              ; attention_bwd.py:165:36
	v_or_b32_e32 v137, s9, v1
	v_writelane_b32 v254, s54, 22
	.loc	1 172 20                        ; attention_bwd.py:172:20
	s_addc_u32 s7, s81, s55
	.loc	1 171 16                        ; attention_bwd.py:171:16
	v_lshlrev_b32_e32 v134, 1, v137
	v_writelane_b32 v254, s55, 23
	.loc	1 172 51                        ; attention_bwd.py:172:51
	v_lshl_add_u64 v[130:131], s[6:7], 0, v[114:115]
	.loc	1 172 20 is_stmt 0              ; attention_bwd.py:172:20
	s_add_u32 s6, s80, s56
	.loc	1 171 16 is_stmt 1              ; attention_bwd.py:171:16
	v_bitop3_b32 v138, v134, s16, v135 bitop3:0x6c
	v_writelane_b32 v254, s56, 24
	.loc	1 172 20                        ; attention_bwd.py:172:20
	s_addc_u32 s7, s81, s57
	.loc	1 171 16                        ; attention_bwd.py:171:16
	v_add_u32_e32 v210, 0, v138
	v_writelane_b32 v254, s57, 25
	.loc	1 172 51                        ; attention_bwd.py:172:51
	v_lshl_add_u64 v[132:133], s[6:7], 0, v[114:115]
	.loc	1 172 20 is_stmt 0              ; attention_bwd.py:172:20
	s_add_u32 s6, s80, s98
	.loc	1 171 16 is_stmt 1              ; attention_bwd.py:171:16
	s_waitcnt vmcnt(31)
	ds_write_b16 v210, v4
	s_waitcnt vmcnt(30)
	ds_write_b16 v210, v5 offset:2048
	s_waitcnt vmcnt(29)
	ds_write_b16 v210, v12 offset:4096
	;; [unrolled: 2-line block ×7, first 2 shown]
	v_xor_b32_e32 v4, 32, v138
	v_writelane_b32 v254, s98, 26
	.loc	1 172 20                        ; attention_bwd.py:172:20
	s_addc_u32 s7, s81, s99
	.loc	1 171 16                        ; attention_bwd.py:171:16
	v_add_u32_e32 v211, 0, v4
	v_xor_b32_e32 v4, 64, v138
	v_writelane_b32 v254, s99, 27
	.loc	1 172 51                        ; attention_bwd.py:172:51
	v_lshl_add_u64 v[128:129], s[6:7], 0, v[114:115]
	.loc	1 172 20 is_stmt 0              ; attention_bwd.py:172:20
	s_add_u32 s6, s80, vcc_lo
	.loc	1 171 16 is_stmt 1              ; attention_bwd.py:171:16
	v_add_u32_e32 v216, 0, v4
	v_xor_b32_e32 v4, 0x60, v138
	v_writelane_b32 v254, vcc_lo, 28
	.loc	1 172 20                        ; attention_bwd.py:172:20
	s_addc_u32 s7, s81, vcc_hi
	.loc	1 171 16                        ; attention_bwd.py:171:16
	v_add_u32_e32 v217, 0, v4
	.loc	1 172 51                        ; attention_bwd.py:172:51
	v_lshl_add_u64 v[124:125], s[6:7], 0, v[114:115]
	.loc	1 171 16                        ; attention_bwd.py:171:16
	s_waitcnt vmcnt(23)
	ds_write_b16 v211, v6 offset:512
	s_waitcnt vmcnt(22)
	ds_write_b16 v211, v7 offset:2560
	;; [unrolled: 2-line block ×24, first 2 shown]
	s_waitcnt lgkmcnt(0)
	s_barrier
	.loc	1 172 16                        ; attention_bwd.py:172:16
	global_load_ushort v5, v[88:89], off
	global_load_ushort v6, v[94:95], off
	;; [unrolled: 1-line block ×32, first 2 shown]
	.loc	1 171 58                        ; attention_bwd.py:171:58
	v_and_b32_e32 v135, 32, v0
	.loc	1 165 36                        ; attention_bwd.py:165:36
	v_and_b32_e32 v170, 31, v0
	.loc	1 171 16                        ; attention_bwd.py:171:16
	v_lshlrev_b32_e32 v134, 3, v0
	v_lshrrev_b32_e32 v136, 1, v135
	s_movk_i32 s6, 0x70
	v_lshlrev_b32_e32 v172, 7, v170
	v_bitop3_b32 v171, v134, v136, s6 bitop3:0x6c
	v_lshl_or_b32 v139, s9, 6, v172
	v_or_b32_e32 v4, v139, v171
	v_add_u32_e32 v212, 0, v4
	v_bitop3_b32 v4, v139, 32, v171 bitop3:0x36
	s_movk_i32 s6, 0x60
	v_add_u32_e32 v213, 0, v4
	v_bitop3_b32 v4, v139, 64, v171 bitop3:0x36
	v_bitop3_b32 v140, v139, s6, v171 bitop3:0x36
	v_add_u32_e32 v214, 0, v4
	ds_read_b128 v[226:229], v212
	ds_read_b128 v[222:225], v213
	v_add_u32_e32 v215, 0, v140
	ds_read_b128 v[234:237], v214
	ds_read_b128 v[230:233], v215
	.loc	1 172 16                        ; attention_bwd.py:172:16
	s_waitcnt lgkmcnt(0)
	s_barrier
	s_waitcnt vmcnt(31)
	ds_write_b16 v210, v5
	s_waitcnt vmcnt(30)
	ds_write_b16 v210, v6 offset:2048
	s_waitcnt vmcnt(29)
	ds_write_b16 v210, v7 offset:4096
	;; [unrolled: 2-line block ×31, first 2 shown]
.Ltmp3:
	.loc	1 41 36                         ; attention_bwd.py:41:36 @[ attention_bwd.py:200:26 ]
	v_mul_lo_u32 v116, s22, v170
	.loc	1 41 56 is_stmt 0               ; attention_bwd.py:41:56 @[ attention_bwd.py:200:26 ]
	v_lshrrev_b32_e32 v6, 5, v137
	.loc	1 41 18                         ; attention_bwd.py:41:18 @[ attention_bwd.py:200:26 ]
	v_ashrrev_i32_e32 v117, 31, v116
	.loc	1 41 67                         ; attention_bwd.py:41:67 @[ attention_bwd.py:200:26 ]
	v_mul_lo_u32 v20, v6, s23
	.loc	1 47 25 is_stmt 1               ; attention_bwd.py:47:25 @[ attention_bwd.py:200:26 ]
	s_cmp_gt_i32 s5, 31
	s_mov_b64 s[20:21], s[90:91]
	s_mov_b64 s[12:13], s[46:47]
	;; [unrolled: 1-line block ×6, first 2 shown]
	v_writelane_b32 v254, vcc_hi, 29
	.loc	1 41 18                         ; attention_bwd.py:41:18 @[ attention_bwd.py:200:26 ]
	v_lshl_add_u64 v[4:5], v[116:117], 1, s[14:15]
	.loc	1 47 25                         ; attention_bwd.py:47:25 @[ attention_bwd.py:200:26 ]
	s_cselect_b64 s[18:19], -1, 0
	s_cmp_lt_i32 s5, 32
	.loc	1 41 49                         ; attention_bwd.py:41:49 @[ attention_bwd.py:200:26 ]
	v_ashrrev_i32_e32 v21, 31, v20
.Ltmp4:
	.loc	1 172 16                        ; attention_bwd.py:172:16
	s_waitcnt lgkmcnt(0)
	s_barrier
.Ltmp5:
	.loc	1 48 21                         ; attention_bwd.py:48:21 @[ attention_bwd.py:200:26 ]
	s_cbranch_scc1 .LBB0_2
; %bb.1:
	.loc	1 41 49                         ; attention_bwd.py:41:49 @[ attention_bwd.py:200:26 ]
	v_lshl_add_u64 v[8:9], v[20:21], 1, v[4:5]
	.loc	1 48 21                         ; attention_bwd.py:48:21 @[ attention_bwd.py:200:26 ]
	global_load_ushort v7, v[8:9], off
	s_branch .LBB0_3
.LBB0_2:
	.loc	1 0 21 is_stmt 0                ; attention_bwd.py:0:21
	v_mov_b32_e32 v7, 0
.LBB0_3:
	.loc	1 41 56 is_stmt 1               ; attention_bwd.py:41:56 @[ attention_bwd.py:200:26 ]
	v_or_b32_e32 v8, 8, v6
	.loc	1 41 67 is_stmt 0               ; attention_bwd.py:41:67 @[ attention_bwd.py:200:26 ]
	v_mul_lo_u32 v22, v8, s23
	.loc	1 48 21 is_stmt 1               ; attention_bwd.py:48:21 @[ attention_bwd.py:200:26 ]
	v_cndmask_b32_e64 v8, 0, 1, s[18:19]
	v_cmp_ne_u32_e64 s[90:91], 1, v8
	s_andn2_b64 vcc, exec, s[18:19]
	.loc	1 41 49                         ; attention_bwd.py:41:49 @[ attention_bwd.py:200:26 ]
	v_ashrrev_i32_e32 v23, 31, v22
	.loc	1 48 21                         ; attention_bwd.py:48:21 @[ attention_bwd.py:200:26 ]
	s_cbranch_vccnz .LBB0_5
; %bb.4:
	.loc	1 41 49                         ; attention_bwd.py:41:49 @[ attention_bwd.py:200:26 ]
	v_lshl_add_u64 v[8:9], v[22:23], 1, v[4:5]
	.loc	1 48 21                         ; attention_bwd.py:48:21 @[ attention_bwd.py:200:26 ]
	global_load_ushort v8, v[8:9], off
	s_branch .LBB0_6
.LBB0_5:
	.loc	1 0 21 is_stmt 0                ; attention_bwd.py:0:21
	v_mov_b32_e32 v8, 0
.LBB0_6:
	.loc	1 41 56 is_stmt 1               ; attention_bwd.py:41:56 @[ attention_bwd.py:200:26 ]
	v_or_b32_e32 v9, 16, v6
	.loc	1 41 67 is_stmt 0               ; attention_bwd.py:41:67 @[ attention_bwd.py:200:26 ]
	v_mul_lo_u32 v24, v9, s23
	.loc	1 48 21 is_stmt 1               ; attention_bwd.py:48:21 @[ attention_bwd.py:200:26 ]
	s_and_b64 vcc, exec, s[90:91]
	.loc	1 41 49                         ; attention_bwd.py:41:49 @[ attention_bwd.py:200:26 ]
	v_ashrrev_i32_e32 v25, 31, v24
	.loc	1 48 21                         ; attention_bwd.py:48:21 @[ attention_bwd.py:200:26 ]
	s_cbranch_vccnz .LBB0_8
; %bb.7:
	.loc	1 41 49                         ; attention_bwd.py:41:49 @[ attention_bwd.py:200:26 ]
	v_lshl_add_u64 v[10:11], v[24:25], 1, v[4:5]
	.loc	1 48 21                         ; attention_bwd.py:48:21 @[ attention_bwd.py:200:26 ]
	global_load_ushort v9, v[10:11], off
	s_branch .LBB0_9
.LBB0_8:
	.loc	1 0 21 is_stmt 0                ; attention_bwd.py:0:21
	v_mov_b32_e32 v9, 0
.LBB0_9:
	.loc	1 41 56 is_stmt 1               ; attention_bwd.py:41:56 @[ attention_bwd.py:200:26 ]
	v_or_b32_e32 v10, 24, v6
	.loc	1 41 67 is_stmt 0               ; attention_bwd.py:41:67 @[ attention_bwd.py:200:26 ]
	v_mul_lo_u32 v26, v10, s23
	.loc	1 48 21 is_stmt 1               ; attention_bwd.py:48:21 @[ attention_bwd.py:200:26 ]
	s_and_b64 vcc, exec, s[90:91]
	;; [unrolled: 20-line block ×6, first 2 shown]
	.loc	1 41 49                         ; attention_bwd.py:41:49 @[ attention_bwd.py:200:26 ]
	v_ashrrev_i32_e32 v35, 31, v34
	.loc	1 48 21                         ; attention_bwd.py:48:21 @[ attention_bwd.py:200:26 ]
	s_cbranch_vccnz .LBB0_23
; %bb.22:
	.loc	1 41 49                         ; attention_bwd.py:41:49 @[ attention_bwd.py:200:26 ]
	v_lshl_add_u64 v[4:5], v[34:35], 1, v[4:5]
	.loc	1 48 21                         ; attention_bwd.py:48:21 @[ attention_bwd.py:200:26 ]
	global_load_ushort v4, v[4:5], off
	s_branch .LBB0_24
.Ltmp6:
.LBB0_23:
	.loc	1 0 21 is_stmt 0                ; attention_bwd.py:0:21
	v_mov_b32_e32 v4, 0
.LBB0_24:
	.loc	1 151 10 is_stmt 1              ; attention_bwd.py:151:10
	s_add_u32 s33, s10, s34
.Ltmp7:
	.loc	1 42 37                         ; attention_bwd.py:42:37 @[ attention_bwd.py:200:26 ]
	s_mul_i32 s42, s4, s22
.Ltmp8:
	.loc	1 151 10                        ; attention_bwd.py:151:10
	s_addc_u32 s16, s11, s35
.Ltmp9:
	.loc	1 58 21                         ; attention_bwd.py:58:21 @[ attention_bwd.py:200:26 ]
	s_and_b64 vcc, exec, s[90:91]
	.loc	1 42 19                         ; attention_bwd.py:42:19 @[ attention_bwd.py:200:26 ]
	s_ashr_i32 s43, s42, 31
	.loc	1 58 21                         ; attention_bwd.py:58:21 @[ attention_bwd.py:200:26 ]
	s_cbranch_vccnz .LBB0_28
; %bb.25:
	.loc	1 42 19                         ; attention_bwd.py:42:19 @[ attention_bwd.py:200:26 ]
	s_lshl_b64 s[6:7], s[42:43], 1
	s_add_u32 s6, s33, s6
	s_addc_u32 s7, s16, s7
	.loc	1 42 50 is_stmt 0               ; attention_bwd.py:42:50 @[ attention_bwd.py:200:26 ]
	v_lshl_add_u64 v[14:15], v[2:3], 1, s[6:7]
	.loc	1 58 21 is_stmt 1               ; attention_bwd.py:58:21 @[ attention_bwd.py:200:26 ]
	global_load_ushort v5, v[14:15], off
	.loc	1 42 37                         ; attention_bwd.py:42:37 @[ attention_bwd.py:200:26 ]
	s_lshl2_add_u32 s44, s22, s42
	.loc	1 58 21                         ; attention_bwd.py:58:21 @[ attention_bwd.py:200:26 ]
	s_and_b64 vcc, exec, s[90:91]
	.loc	1 42 19                         ; attention_bwd.py:42:19 @[ attention_bwd.py:200:26 ]
	s_ashr_i32 s45, s44, 31
	.loc	1 58 21                         ; attention_bwd.py:58:21 @[ attention_bwd.py:200:26 ]
	s_cbranch_vccz .LBB0_29
.LBB0_26:
	.loc	1 0 21 is_stmt 0                ; attention_bwd.py:0:21
	v_mov_b32_e32 v6, 0
	.loc	1 42 37 is_stmt 1               ; attention_bwd.py:42:37 @[ attention_bwd.py:200:26 ]
	s_lshl3_add_u32 s46, s22, s42
	.loc	1 58 21                         ; attention_bwd.py:58:21 @[ attention_bwd.py:200:26 ]
	s_and_b64 vcc, exec, s[90:91]
	.loc	1 42 19                         ; attention_bwd.py:42:19 @[ attention_bwd.py:200:26 ]
	s_ashr_i32 s47, s46, 31
	.loc	1 58 21                         ; attention_bwd.py:58:21 @[ attention_bwd.py:200:26 ]
	s_cbranch_vccz .LBB0_30
.LBB0_27:
	.loc	1 0 21 is_stmt 0                ; attention_bwd.py:0:21
	v_mov_b32_e32 v14, 0
	.loc	1 58 21                         ; attention_bwd.py:58:21 @[ attention_bwd.py:200:26 ]
	s_branch .LBB0_31
.LBB0_28:
	.loc	1 0 21                          ; attention_bwd.py:0:21
	v_mov_b32_e32 v5, 0
	.loc	1 42 37 is_stmt 1               ; attention_bwd.py:42:37 @[ attention_bwd.py:200:26 ]
	s_lshl2_add_u32 s44, s22, s42
	.loc	1 58 21                         ; attention_bwd.py:58:21 @[ attention_bwd.py:200:26 ]
	s_and_b64 vcc, exec, s[90:91]
	.loc	1 42 19                         ; attention_bwd.py:42:19 @[ attention_bwd.py:200:26 ]
	s_ashr_i32 s45, s44, 31
	.loc	1 58 21                         ; attention_bwd.py:58:21 @[ attention_bwd.py:200:26 ]
	s_cbranch_vccnz .LBB0_26
.LBB0_29:
	.loc	1 42 19                         ; attention_bwd.py:42:19 @[ attention_bwd.py:200:26 ]
	s_lshl_b64 s[6:7], s[44:45], 1
	s_add_u32 s6, s33, s6
	s_addc_u32 s7, s16, s7
	.loc	1 42 50 is_stmt 0               ; attention_bwd.py:42:50 @[ attention_bwd.py:200:26 ]
	v_lshl_add_u64 v[14:15], v[2:3], 1, s[6:7]
	.loc	1 58 21 is_stmt 1               ; attention_bwd.py:58:21 @[ attention_bwd.py:200:26 ]
	global_load_ushort v6, v[14:15], off
	.loc	1 42 37                         ; attention_bwd.py:42:37 @[ attention_bwd.py:200:26 ]
	s_lshl3_add_u32 s46, s22, s42
	.loc	1 58 21                         ; attention_bwd.py:58:21 @[ attention_bwd.py:200:26 ]
	s_and_b64 vcc, exec, s[90:91]
	.loc	1 42 19                         ; attention_bwd.py:42:19 @[ attention_bwd.py:200:26 ]
	s_ashr_i32 s47, s46, 31
	.loc	1 58 21                         ; attention_bwd.py:58:21 @[ attention_bwd.py:200:26 ]
	s_cbranch_vccnz .LBB0_27
.LBB0_30:
	.loc	1 42 19                         ; attention_bwd.py:42:19 @[ attention_bwd.py:200:26 ]
	s_lshl_b64 s[6:7], s[46:47], 1
	s_add_u32 s6, s33, s6
	s_addc_u32 s7, s16, s7
	.loc	1 42 50 is_stmt 0               ; attention_bwd.py:42:50 @[ attention_bwd.py:200:26 ]
	v_lshl_add_u64 v[14:15], v[2:3], 1, s[6:7]
	.loc	1 58 21 is_stmt 1               ; attention_bwd.py:58:21 @[ attention_bwd.py:200:26 ]
	global_load_ushort v14, v[14:15], off
.LBB0_31:
	.loc	1 42 37                         ; attention_bwd.py:42:37 @[ attention_bwd.py:200:26 ]
	s_mul_i32 s4, s22, 12
	s_add_i32 s48, s42, s4
	.loc	1 58 21                         ; attention_bwd.py:58:21 @[ attention_bwd.py:200:26 ]
	s_and_b64 vcc, exec, s[90:91]
	.loc	1 42 19                         ; attention_bwd.py:42:19 @[ attention_bwd.py:200:26 ]
	s_ashr_i32 s49, s48, 31
	.loc	1 58 21                         ; attention_bwd.py:58:21 @[ attention_bwd.py:200:26 ]
	s_cbranch_vccnz .LBB0_34
; %bb.32:
	.loc	1 42 19                         ; attention_bwd.py:42:19 @[ attention_bwd.py:200:26 ]
	s_lshl_b64 s[6:7], s[48:49], 1
	s_add_u32 s6, s33, s6
	s_addc_u32 s7, s16, s7
	.loc	1 42 50 is_stmt 0               ; attention_bwd.py:42:50 @[ attention_bwd.py:200:26 ]
	v_lshl_add_u64 v[16:17], v[2:3], 1, s[6:7]
	.loc	1 58 21 is_stmt 1               ; attention_bwd.py:58:21 @[ attention_bwd.py:200:26 ]
	global_load_ushort v15, v[16:17], off
	.loc	1 42 37                         ; attention_bwd.py:42:37 @[ attention_bwd.py:200:26 ]
	s_lshl4_add_u32 s50, s22, s42
	.loc	1 58 21                         ; attention_bwd.py:58:21 @[ attention_bwd.py:200:26 ]
	s_and_b64 vcc, exec, s[90:91]
	.loc	1 42 19                         ; attention_bwd.py:42:19 @[ attention_bwd.py:200:26 ]
	s_ashr_i32 s51, s50, 31
	.loc	1 58 21                         ; attention_bwd.py:58:21 @[ attention_bwd.py:200:26 ]
	s_cbranch_vccz .LBB0_35
.LBB0_33:
	.loc	1 0 21 is_stmt 0                ; attention_bwd.py:0:21
	v_mov_b32_e32 v16, 0
	.loc	1 58 21                         ; attention_bwd.py:58:21 @[ attention_bwd.py:200:26 ]
	s_branch .LBB0_36
.LBB0_34:
	.loc	1 0 21                          ; attention_bwd.py:0:21
	v_mov_b32_e32 v15, 0
	.loc	1 42 37 is_stmt 1               ; attention_bwd.py:42:37 @[ attention_bwd.py:200:26 ]
	s_lshl4_add_u32 s50, s22, s42
	.loc	1 58 21                         ; attention_bwd.py:58:21 @[ attention_bwd.py:200:26 ]
	s_and_b64 vcc, exec, s[90:91]
	.loc	1 42 19                         ; attention_bwd.py:42:19 @[ attention_bwd.py:200:26 ]
	s_ashr_i32 s51, s50, 31
	.loc	1 58 21                         ; attention_bwd.py:58:21 @[ attention_bwd.py:200:26 ]
	s_cbranch_vccnz .LBB0_33
.LBB0_35:
	.loc	1 42 19                         ; attention_bwd.py:42:19 @[ attention_bwd.py:200:26 ]
	s_lshl_b64 s[6:7], s[50:51], 1
	s_add_u32 s6, s33, s6
	s_addc_u32 s7, s16, s7
	.loc	1 42 50 is_stmt 0               ; attention_bwd.py:42:50 @[ attention_bwd.py:200:26 ]
	v_lshl_add_u64 v[16:17], v[2:3], 1, s[6:7]
	.loc	1 58 21 is_stmt 1               ; attention_bwd.py:58:21 @[ attention_bwd.py:200:26 ]
	global_load_ushort v16, v[16:17], off
.LBB0_36:
	.loc	1 42 37                         ; attention_bwd.py:42:37 @[ attention_bwd.py:200:26 ]
	s_mul_i32 s4, s22, 20
	s_add_i32 s52, s42, s4
	.loc	1 58 21                         ; attention_bwd.py:58:21 @[ attention_bwd.py:200:26 ]
	s_and_b64 vcc, exec, s[90:91]
	.loc	1 42 19                         ; attention_bwd.py:42:19 @[ attention_bwd.py:200:26 ]
	s_ashr_i32 s53, s52, 31
	.loc	1 58 21                         ; attention_bwd.py:58:21 @[ attention_bwd.py:200:26 ]
	s_cbranch_vccnz .LBB0_38
; %bb.37:
	.loc	1 42 19                         ; attention_bwd.py:42:19 @[ attention_bwd.py:200:26 ]
	s_lshl_b64 s[6:7], s[52:53], 1
	s_add_u32 s6, s33, s6
	s_addc_u32 s7, s16, s7
	.loc	1 42 50 is_stmt 0               ; attention_bwd.py:42:50 @[ attention_bwd.py:200:26 ]
	v_lshl_add_u64 v[18:19], v[2:3], 1, s[6:7]
	.loc	1 58 21 is_stmt 1               ; attention_bwd.py:58:21 @[ attention_bwd.py:200:26 ]
	global_load_ushort v17, v[18:19], off
	s_branch .LBB0_39
.LBB0_38:
	.loc	1 0 21 is_stmt 0                ; attention_bwd.py:0:21
	v_mov_b32_e32 v17, 0
.LBB0_39:
	s_load_dwordx4 s[24:27], s[0:1], 0x40
	.loc	1 42 37 is_stmt 1               ; attention_bwd.py:42:37 @[ attention_bwd.py:200:26 ]
	s_mul_i32 s4, s22, 24
	s_add_i32 s54, s42, s4
	.loc	1 58 21                         ; attention_bwd.py:58:21 @[ attention_bwd.py:200:26 ]
	s_and_b64 vcc, exec, s[90:91]
	.loc	1 42 19                         ; attention_bwd.py:42:19 @[ attention_bwd.py:200:26 ]
	s_ashr_i32 s55, s54, 31
	.loc	1 58 21                         ; attention_bwd.py:58:21 @[ attention_bwd.py:200:26 ]
	s_cbranch_vccnz .LBB0_41
; %bb.40:
	.loc	1 42 19                         ; attention_bwd.py:42:19 @[ attention_bwd.py:200:26 ]
	s_lshl_b64 s[6:7], s[54:55], 1
	s_add_u32 s6, s33, s6
	s_addc_u32 s7, s16, s7
	.loc	1 42 50 is_stmt 0               ; attention_bwd.py:42:50 @[ attention_bwd.py:200:26 ]
	v_lshl_add_u64 v[18:19], v[2:3], 1, s[6:7]
	.loc	1 58 21 is_stmt 1               ; attention_bwd.py:58:21 @[ attention_bwd.py:200:26 ]
	global_load_ushort v18, v[18:19], off
	s_branch .LBB0_42
.LBB0_41:
	.loc	1 0 21 is_stmt 0                ; attention_bwd.py:0:21
	v_mov_b32_e32 v18, 0
.LBB0_42:
	.loc	1 42 37 is_stmt 1               ; attention_bwd.py:42:37 @[ attention_bwd.py:200:26 ]
	s_mul_i32 s4, s22, 28
	s_add_i32 s56, s42, s4
	.loc	1 58 21                         ; attention_bwd.py:58:21 @[ attention_bwd.py:200:26 ]
	s_and_b64 vcc, exec, s[90:91]
	.loc	1 42 19                         ; attention_bwd.py:42:19 @[ attention_bwd.py:200:26 ]
	s_ashr_i32 s57, s56, 31
	.loc	1 58 21                         ; attention_bwd.py:58:21 @[ attention_bwd.py:200:26 ]
	s_cbranch_vccnz .LBB0_44
; %bb.43:
	.loc	1 42 19                         ; attention_bwd.py:42:19 @[ attention_bwd.py:200:26 ]
	s_lshl_b64 s[6:7], s[56:57], 1
	s_add_u32 s6, s33, s6
	s_addc_u32 s7, s16, s7
	.loc	1 42 50 is_stmt 0               ; attention_bwd.py:42:50 @[ attention_bwd.py:200:26 ]
	v_lshl_add_u64 v[2:3], v[2:3], 1, s[6:7]
	.loc	1 58 21 is_stmt 1               ; attention_bwd.py:58:21 @[ attention_bwd.py:200:26 ]
	global_load_ushort v3, v[2:3], off
	v_mov_b32_e32 v2, v136
	s_branch .LBB0_45
.Ltmp10:
.LBB0_44:
	.loc	1 0 21 is_stmt 0                ; attention_bwd.py:0:21
	v_mov_b32_e32 v3, 0
	.loc	1 200 26 is_stmt 1              ; attention_bwd.py:200:26
	v_bfrev_b32_e32 v2, 1
.LBB0_45:
	.loc	1 143 22                        ; attention_bwd.py:143:22
	s_mul_i32 s6, s5, s17
	.loc	1 143 32 is_stmt 0              ; attention_bwd.py:143:32
	s_ashr_i32 s7, s6, 31
	.loc	1 155 9 is_stmt 1               ; attention_bwd.py:155:9
	s_lshl_b64 s[6:7], s[6:7], 2
	s_waitcnt lgkmcnt(0)
	s_add_u32 vcc_lo, s24, s6
	s_addc_u32 vcc_hi, s25, s7
	v_accvgpr_write_b32 a45, v21
	.loc	1 156 9                         ; attention_bwd.py:156:9
	s_add_u32 s98, s26, s6
.Ltmp11:
	.loc	1 38 36                         ; attention_bwd.py:38:36 @[ attention_bwd.py:200:26 ]
	v_and_b32_e32 v19, 28, v136
	v_accvgpr_write_b32 a59, v35
	v_accvgpr_write_b32 a57, v33
	;; [unrolled: 1-line block ×8, first 2 shown]
.Ltmp12:
	.loc	1 156 9                         ; attention_bwd.py:156:9
	s_addc_u32 s99, s27, s7
.Ltmp13:
	.loc	1 51 20                         ; attention_bwd.py:51:20 @[ attention_bwd.py:200:26 ]
	s_and_b32 s29, vcc_hi, 0xffff
	v_writelane_b32 v254, vcc_lo, 30
	v_or_b32_e32 v20, 4, v19
	v_bfrev_b32_e32 v21, 1
	v_accvgpr_write_b32 a58, v34
	v_accvgpr_write_b32 a56, v32
	v_accvgpr_write_b32 a54, v30
	v_accvgpr_write_b32 a52, v28
	v_accvgpr_write_b32 a50, v26
	v_accvgpr_write_b32 a48, v24
	v_accvgpr_write_b32 a46, v22
	s_mov_b32 s31, 0x27000
	s_mov_b32 s30, 0x7ffffffe
	v_writelane_b32 v254, vcc_hi, 31
	s_mov_b32 s28, vcc_lo
	v_cndmask_b32_e64 v20, v21, v20, s[18:19]
	v_or_b32_e32 v22, 8, v19
	v_or_b32_e32 v23, 12, v19
	;; [unrolled: 1-line block ×14, first 2 shown]
	v_cndmask_b32_e64 v22, v21, v22, s[18:19]
	v_cndmask_b32_e64 v23, v21, v23, s[18:19]
	;; [unrolled: 1-line block ×7, first 2 shown]
	buffer_load_dword v168, v20, s[28:31], 0 offen
	buffer_load_dword v167, v22, s[28:31], 0 offen
	;; [unrolled: 1-line block ×8, first 2 shown]
	v_cndmask_b32_e64 v29, v21, v29, s[18:19]
	v_cndmask_b32_e64 v30, v21, v30, s[18:19]
	;; [unrolled: 1-line block ×7, first 2 shown]
	buffer_load_dword v169, v2, s[28:31], 0 offen
	buffer_load_dword v166, v29, s[28:31], 0 offen
	;; [unrolled: 1-line block ×8, first 2 shown]
	.loc	1 64 21                         ; attention_bwd.py:64:21 @[ attention_bwd.py:200:26 ]
	s_and_b32 s29, s99, 0xffff
	v_writelane_b32 v254, s98, 32
	s_mov_b32 s28, s98
	buffer_load_dword v139, v20, s[28:31], 0 offen
	buffer_load_dword v140, v22, s[28:31], 0 offen
	;; [unrolled: 1-line block ×16, first 2 shown]
.Ltmp14:
	.loc	1 191 37                        ; attention_bwd.py:191:37
	s_ashr_i32 s4, s5, 31
	ds_read_b128 v[250:253], v212
	ds_read_b128 v[246:249], v213
	;; [unrolled: 1-line block ×4, first 2 shown]
	s_lshr_b32 s4, s4, 27
	s_add_i32 s4, s5, s4
	s_ashr_i32 s17, s4, 5
.Ltmp15:
	.loc	1 47 25                         ; attention_bwd.py:47:25 @[ attention_bwd.py:200:26 ]
	s_cmp_gt_i32 s5, 63
	v_writelane_b32 v254, s99, 33
	s_cselect_b64 s[4:5], -1, 0
	v_writelane_b32 v254, s4, 34
.Ltmp16:
	.loc	1 171 58                        ; attention_bwd.py:171:58
	v_cmp_eq_u32_e64 s[18:19], 0, v135
	v_lshrrev_b32_e32 v219, 2, v135
	v_writelane_b32 v254, s5, 35
.Ltmp17:
	.loc	1 47 25                         ; attention_bwd.py:47:25 @[ attention_bwd.py:200:26 ]
	s_and_b64 vcc, exec, s[4:5]
	v_and_b32_e32 v178, 12, v0
	v_and_b32_e32 v177, 24, v134
	v_lshlrev_b32_e32 v179, 1, v0
	.loc	1 48 21                         ; attention_bwd.py:48:21 @[ attention_bwd.py:200:26 ]
	s_waitcnt lgkmcnt(0)
	s_barrier
	s_waitcnt vmcnt(32)
	ds_write_b16 v210, v7
	ds_write_b16 v210, v9 offset:1024
	ds_write_b16 v210, v11 offset:2048
	;; [unrolled: 1-line block ×7, first 2 shown]
	.loc	1 58 21                         ; attention_bwd.py:58:21 @[ attention_bwd.py:200:26 ]
	ds_write_b16 v210, v5 offset:4096
	ds_write_b16 v210, v16 offset:6144
	;; [unrolled: 1-line block ×8, first 2 shown]
	.loc	1 47 25                         ; attention_bwd.py:47:25 @[ attention_bwd.py:200:26 ]
	s_cbranch_vccnz .LBB0_47
; %bb.46:                               ; %.._crit_edge_crit_edge
	.loc	1 69 26                         ; attention_bwd.py:69:26 @[ attention_bwd.py:200:26 ]
	v_lshlrev_b32_e32 v2, 2, v178
	v_lshl_or_b32 v2, v170, 6, v2
	.loc	1 48 21                         ; attention_bwd.py:48:21 @[ attention_bwd.py:200:26 ]
	v_mov_b32_e32 v4, 0x220
	.loc	1 69 26                         ; attention_bwd.py:69:26 @[ attention_bwd.py:200:26 ]
	v_or_b32_e32 v173, v2, v219
	v_bitop3_b32 v174, v2, 16, v219 bitop3:0x36
	v_bitop3_b32 v175, v2, 32, v219 bitop3:0x36
	;; [unrolled: 1-line block ×3, first 2 shown]
	.loc	1 48 21                         ; attention_bwd.py:48:21 @[ attention_bwd.py:200:26 ]
	v_lshlrev_b32_e32 v2, 4, v178
	v_and_b32_e32 v3, 32, v179
	v_cndmask_b32_e64 v182, v4, 0, s[18:19]
	v_bitop3_b32 v2, v182, v2, v3 bitop3:0xde
	s_movk_i32 s4, 0x110
	v_or_b32_e32 v183, v2, v177
	v_bitop3_b32 v66, v2, s4, v177 bitop3:0x36
	s_mov_b64 s[4:5], 0
	s_branch .LBB0_48
.LBB0_47:
	.loc	1 0 21 is_stmt 0                ; attention_bwd.py:0:21
	s_mov_b64 s[4:5], -1
                                        ; implicit-def: $vgpr173
                                        ; implicit-def: $vgpr174
                                        ; implicit-def: $vgpr175
                                        ; implicit-def: $vgpr176
                                        ; implicit-def: $vgpr182
                                        ; implicit-def: $vgpr183
                                        ; implicit-def: $vgpr66
.LBB0_48:                               ; %Flow1076
	s_load_dwordx2 s[30:31], s[0:1], 0x38
	v_or_b32_e32 v180, v171, v172
	v_add_u32_e32 v1, s9, v1
	s_lshl_b32 s28, s22, 5
	s_add_i32 s17, s17, -1
	v_mov_b32_e32 v2, 0
	s_andn2_b64 vcc, exec, s[4:5]
	v_lshrrev_b32_e32 v218, 5, v1
	v_lshlrev_b64 v[134:135], 1, v[116:117]
	v_add_u32_e32 v181, 0, v180
	s_cbranch_vccnz .LBB0_52
; %bb.49:                               ; %.lr.ph
	v_lshlrev_b32_e32 v1, 2, v178
	v_lshl_or_b32 v1, v170, 6, v1
	v_mov_b32_e32 v4, 0x220
	v_or_b32_e32 v173, v1, v219
	v_bitop3_b32 v174, v1, 16, v219 bitop3:0x36
	v_bitop3_b32 v175, v1, 32, v219 bitop3:0x36
	;; [unrolled: 1-line block ×3, first 2 shown]
	v_lshlrev_b32_e32 v1, 4, v178
	v_and_b32_e32 v3, 32, v179
	v_cndmask_b32_e64 v182, v4, 0, s[18:19]
	v_bitop3_b32 v1, v182, v1, v3 bitop3:0xde
	v_or_b32_e32 v183, v1, v177
	v_bitop3_b32 v3, v1, 16, v177 bitop3:0x36
	v_lshlrev_b32_e32 v1, 5, v178
	v_and_b32_e32 v4, 48, v179
	.loc	1 47 25 is_stmt 1               ; attention_bwd.py:47:25 @[ attention_bwd.py:200:26 ]
	v_lshrrev_b32_e32 v0, 1, v0
	s_ashr_i32 s29, s28, 31
	v_bitop3_b32 v1, v1, v4, v177 bitop3:0x36
	v_and_b32_e32 v4, 16, v0
	v_mov_b32_e32 v5, v2
	s_movk_i32 s0, 0x60
	v_xor_b32_e32 v9, v1, v182
	s_max_i32 s18, s17, 1
	v_lshl_add_u64 v[0:1], s[24:25], 0, v[4:5]
	s_lshl_b64 s[24:25], s[56:57], 1
	s_lshl_b64 s[4:5], s[28:29], 1
	v_bitop3_b32 v8, v171, s0, v172 bitop3:0x36
	s_add_u32 s0, s10, s4
	s_addc_u32 s1, s11, s5
	s_add_u32 s10, s0, s24
	s_addc_u32 s11, s1, s25
	v_lshl_add_u64 v[84:85], s[10:11], 0, v[114:115]
	s_lshl_b64 s[10:11], s[54:55], 1
	s_add_u32 s10, s0, s10
	s_addc_u32 s11, s1, s11
	v_lshl_add_u64 v[86:87], s[10:11], 0, v[114:115]
	s_lshl_b64 s[10:11], s[52:53], 1
	s_add_u32 s10, s0, s10
	s_addc_u32 s11, s1, s11
	v_lshl_add_u64 v[88:89], s[10:11], 0, v[114:115]
	s_lshl_b64 s[10:11], s[50:51], 1
	s_add_u32 s10, s0, s10
	s_addc_u32 s11, s1, s11
	v_lshl_add_u64 v[90:91], s[10:11], 0, v[114:115]
	s_lshl_b64 s[10:11], s[48:49], 1
	s_add_u32 s10, s0, s10
	s_addc_u32 s11, s1, s11
	v_lshl_add_u64 v[92:93], s[10:11], 0, v[114:115]
	s_lshl_b64 s[10:11], s[46:47], 1
	s_add_u32 s10, s0, s10
	s_addc_u32 s11, s1, s11
	v_lshl_add_u64 v[94:95], s[10:11], 0, v[114:115]
	s_lshl_b64 s[10:11], s[44:45], 1
	s_add_u32 s10, s0, s10
	s_addc_u32 s11, s1, s11
	v_lshl_add_u64 v[96:97], s[10:11], 0, v[114:115]
	s_lshl_b64 s[10:11], s[42:43], 1
	v_lshl_add_u64 v[82:83], s[26:27], 0, v[4:5]
	s_add_u32 s10, s0, s10
	v_add_u32_e32 v4, 56, v218
	s_addc_u32 s11, s1, s11
	v_mul_lo_u32 v4, s23, v4
	v_ashrrev_i32_e32 v5, 31, v4
	s_add_u32 s2, s2, s4
	v_lshl_add_u64 v[4:5], v[4:5], 1, v[134:135]
	s_addc_u32 s3, s3, s5
	v_lshl_add_u64 v[100:101], s[2:3], 0, v[4:5]
	v_or_b32_e32 v4, 48, v218
	v_mul_lo_u32 v4, s23, v4
	v_ashrrev_i32_e32 v5, 31, v4
	v_lshl_add_u64 v[4:5], v[4:5], 1, v[134:135]
	v_lshl_add_u64 v[102:103], s[2:3], 0, v[4:5]
	v_add_u32_e32 v4, 40, v218
	v_mul_lo_u32 v4, s23, v4
	v_ashrrev_i32_e32 v5, 31, v4
	v_lshl_add_u64 v[4:5], v[4:5], 1, v[134:135]
	v_lshl_add_u64 v[104:105], s[2:3], 0, v[4:5]
	v_or_b32_e32 v4, 32, v218
	v_mul_lo_u32 v4, s23, v4
	v_ashrrev_i32_e32 v5, 31, v4
	v_lshl_add_u64 v[4:5], v[4:5], 1, v[134:135]
	v_lshl_add_u64 v[106:107], s[2:3], 0, v[4:5]
	v_add_u32_e32 v4, 24, v218
	v_mul_lo_u32 v4, s23, v4
	v_ashrrev_i32_e32 v5, 31, v4
	v_lshl_add_u64 v[4:5], v[4:5], 1, v[134:135]
	v_lshl_add_u64 v[108:109], s[2:3], 0, v[4:5]
	v_or_b32_e32 v4, 16, v218
	v_mul_lo_u32 v4, s23, v4
	v_ashrrev_i32_e32 v5, 31, v4
	v_lshl_add_u64 v[4:5], v[4:5], 1, v[134:135]
	v_lshl_add_u64 v[110:111], s[2:3], 0, v[4:5]
	v_add_u32_e32 v4, 8, v218
	v_mul_lo_u32 v4, s23, v4
	v_ashrrev_i32_e32 v5, 31, v4
	v_lshl_add_u64 v[4:5], v[4:5], 1, v[134:135]
	v_lshl_add_u64 v[112:113], s[2:3], 0, v[4:5]
	v_mul_lo_u32 v4, s23, v218
	v_ashrrev_i32_e32 v5, 31, v4
	v_bitop3_b32 v6, v171, 32, v172 bitop3:0x36
	v_bitop3_b32 v7, v171, 64, v172 bitop3:0x36
	v_lshl_add_u64 v[4:5], v[4:5], 1, v[134:135]
	v_lshl_add_u64 v[98:99], s[10:11], 0, v[114:115]
	;; [unrolled: 1-line block ×3, first 2 shown]
	v_add_u32_e32 v184, 0, v3
	v_add_u32_e32 v185, 0, v6
	;; [unrolled: 1-line block ×5, first 2 shown]
	s_mov_b64 s[2:3], 0x80
	v_mov_b32_e32 v3, v2
	v_mov_b32_e32 v4, v2
	;; [unrolled: 1-line block ×63, first 2 shown]
	s_mov_b32 s0, s28
.LBB0_50:                               ; =>This Inner Loop Header: Depth=1
	.loc	1 72 19                         ; attention_bwd.py:72:19 @[ attention_bwd.py:200:26 ]
	v_lshl_add_u64 v[66:67], v[152:153], 0, s[34:35]
	v_lshl_add_u64 v[68:69], v[112:113], 0, s[34:35]
	;; [unrolled: 1-line block ×7, first 2 shown]
	.loc	1 73 19                         ; attention_bwd.py:73:19 @[ attention_bwd.py:200:26 ]
	v_lshl_add_u64 v[80:81], v[100:101], 0, s[34:35]
	.loc	1 48 21                         ; attention_bwd.py:48:21 @[ attention_bwd.py:200:26 ]
	global_load_ushort v132, v[66:67], off
	global_load_ushort v133, v[68:69], off
	;; [unrolled: 1-line block ×8, first 2 shown]
	.loc	1 69 26                         ; attention_bwd.py:69:26 @[ attention_bwd.py:200:26 ]
	v_add_u32_e32 v66, 0, v173
	s_waitcnt lgkmcnt(0)
	s_barrier
	ds_read2st64_b64 v[190:193], v66 offset1:4
	v_add_u32_e32 v66, 0, v174
	ds_read2st64_b64 v[198:201], v66 offset1:4
	v_add_u32_e32 v66, 0, v175
	;; [unrolled: 2-line block ×3, first 2 shown]
	ds_read2st64_b64 v[124:127], v66 offset1:4
	.loc	1 48 21                         ; attention_bwd.py:48:21 @[ attention_bwd.py:200:26 ]
	v_add_u32_e32 v66, 0, v183
	ds_read_b64_tr_b16 v[128:129], v66
	ds_read_b64_tr_b16 a[16:17], v66 offset:1024
	ds_read_b64_tr_b16 a[20:21], v66 offset:2048
	;; [unrolled: 1-line block ×7, first 2 shown]
	.loc	1 51 24                         ; attention_bwd.py:51:24 @[ attention_bwd.py:200:26 ]
	v_lshl_add_u64 v[66:67], v[0:1], 0, s[6:7]
	.loc	1 51 20 is_stmt 0               ; attention_bwd.py:51:20 @[ attention_bwd.py:200:26 ]
	global_load_dwordx4 a[0:3], v[66:67], off offset:128
	global_load_dwordx4 a[4:7], v[66:67], off offset:160
	;; [unrolled: 1-line block ×4, first 2 shown]
	.loc	1 52 24 is_stmt 1               ; attention_bwd.py:52:24 @[ attention_bwd.py:200:26 ]
	s_waitcnt lgkmcnt(3)
	v_mfma_f32_32x32x16_f16 v[66:81], v[128:131], v[226:229], 0
	.loc	1 73 19                         ; attention_bwd.py:73:19 @[ attention_bwd.py:200:26 ]
	v_lshl_add_u64 v[194:195], v[98:99], 0, s[34:35]
	v_lshl_add_u64 v[196:197], v[96:97], 0, s[34:35]
	;; [unrolled: 1-line block ×7, first 2 shown]
	.loc	1 52 24                         ; attention_bwd.py:52:24 @[ attention_bwd.py:200:26 ]
	s_waitcnt lgkmcnt(2)
	v_mfma_f32_32x32x16_f16 v[66:81], a[16:19], v[222:225], v[66:81]
	.loc	1 48 21                         ; attention_bwd.py:48:21 @[ attention_bwd.py:200:26 ]
	v_lshl_add_u64 v[122:123], v[84:85], 0, s[34:35]
	.loc	1 58 21                         ; attention_bwd.py:58:21 @[ attention_bwd.py:200:26 ]
	global_load_ushort a37, v[194:195], off
	global_load_ushort a38, v[196:197], off
	;; [unrolled: 1-line block ×4, first 2 shown]
	s_nop 0
	global_load_ushort v220, v[220:221], off
	s_nop 0
	global_load_ushort v221, v[118:119], off
	global_load_ushort a41, v[120:121], off
	;; [unrolled: 1-line block ×3, first 2 shown]
	.loc	1 69 26                         ; attention_bwd.py:69:26 @[ attention_bwd.py:200:26 ]
	v_mov_b32_e32 v122, v202
	v_mov_b32_e32 v123, v203
	.loc	1 47 25                         ; attention_bwd.py:47:25 @[ attention_bwd.py:200:26 ]
	s_add_i32 s18, s18, -1
	v_lshl_add_u64 v[0:1], v[0:1], 0, s[2:3]
	v_lshl_add_u64 v[84:85], v[84:85], 0, s[4:5]
	.loc	1 52 24                         ; attention_bwd.py:52:24 @[ attention_bwd.py:200:26 ]
	s_waitcnt lgkmcnt(1)
	v_mfma_f32_32x32x16_f16 v[66:81], a[20:23], v[234:237], v[66:81]
	.loc	1 47 25                         ; attention_bwd.py:47:25 @[ attention_bwd.py:200:26 ]
	v_lshl_add_u64 v[86:87], v[86:87], 0, s[4:5]
	v_lshl_add_u64 v[88:89], v[88:89], 0, s[4:5]
	;; [unrolled: 1-line block ×7, first 2 shown]
	.loc	1 52 24                         ; attention_bwd.py:52:24 @[ attention_bwd.py:200:26 ]
	s_waitcnt lgkmcnt(0)
	v_mfma_f32_32x32x16_f16 v[66:81], a[24:27], v[230:233], v[66:81]
	.loc	1 47 25                         ; attention_bwd.py:47:25 @[ attention_bwd.py:200:26 ]
	v_lshl_add_u64 v[100:101], v[100:101], 0, s[4:5]
	v_lshl_add_u64 v[102:103], v[102:103], 0, s[4:5]
	;; [unrolled: 1-line block ×8, first 2 shown]
	s_cmp_lg_u32 s18, 0
	.loc	1 53 32                         ; attention_bwd.py:53:32 @[ attention_bwd.py:200:26 ]
	s_waitcnt vmcnt(43)
	s_nop 1
	v_sub_f32_e32 v66, v66, v169
	v_sub_f32_e32 v67, v67, v168
	;; [unrolled: 1-line block ×9, first 2 shown]
	s_waitcnt vmcnt(39)
	v_sub_f32_e32 v78, v78, v160
	s_waitcnt vmcnt(38)
	v_sub_f32_e32 v79, v79, v158
	;; [unrolled: 2-line block ×4, first 2 shown]
	.loc	1 53 26 is_stmt 0               ; attention_bwd.py:53:26 @[ attention_bwd.py:200:26 ]
	v_exp_f32_e32 v154, v66
	v_exp_f32_e32 v155, v67
	;; [unrolled: 1-line block ×8, first 2 shown]
	.loc	1 53 32                         ; attention_bwd.py:53:32 @[ attention_bwd.py:200:26 ]
	v_sub_f32_e32 v75, v75, v166
	v_sub_f32_e32 v76, v76, v164
	;; [unrolled: 1-line block ×3, first 2 shown]
	.loc	1 53 26                         ; attention_bwd.py:53:26 @[ attention_bwd.py:200:26 ]
	v_exp_f32_e32 v162, v74
	v_exp_f32_e32 v163, v75
	;; [unrolled: 1-line block ×8, first 2 shown]
	.loc	1 66 24 is_stmt 1               ; attention_bwd.py:66:24 @[ attention_bwd.py:200:26 ]
	ds_read_b128 v[118:121], v181 offset:4096
	ds_read_b128 v[128:131], v185 offset:4096
	;; [unrolled: 1-line block ×4, first 2 shown]
	.loc	1 58 21                         ; attention_bwd.py:58:21 @[ attention_bwd.py:200:26 ]
	ds_read_b64_tr_b16 v[74:75], v188 offset:4096
	ds_read_b64_tr_b16 v[76:77], v188 offset:5184
	;; [unrolled: 1-line block ×8, first 2 shown]
	.loc	1 61 21                         ; attention_bwd.py:61:21 @[ attention_bwd.py:200:26 ]
	v_cvt_pk_f16_f32 v66, v154, v155
	v_cvt_pk_f16_f32 v67, v156, v157
	;; [unrolled: 1-line block ×6, first 2 shown]
	.loc	1 62 26                         ; attention_bwd.py:62:26 @[ attention_bwd.py:200:26 ]
	s_waitcnt lgkmcnt(2)
	v_mfma_f32_32x32x16_f16 v[18:33], a[16:19], v[66:69], v[18:33]
	.loc	1 61 21                         ; attention_bwd.py:61:21 @[ attention_bwd.py:200:26 ]
	v_cvt_pk_f16_f32 v72, v166, v167
	v_cvt_pk_f16_f32 v73, v168, v169
	.loc	1 62 26                         ; attention_bwd.py:62:26 @[ attention_bwd.py:200:26 ]
	v_mfma_f32_32x32x16_f16 v[2:17], v[74:77], v[66:69], v[2:17]
	.loc	1 64 25                         ; attention_bwd.py:64:25 @[ attention_bwd.py:200:26 ]
	v_lshl_add_u64 v[66:67], v[82:83], 0, s[6:7]
	.loc	1 47 25                         ; attention_bwd.py:47:25 @[ attention_bwd.py:200:26 ]
	v_lshl_add_u64 v[82:83], v[82:83], 0, s[2:3]
	.loc	1 62 26                         ; attention_bwd.py:62:26 @[ attention_bwd.py:200:26 ]
	s_waitcnt lgkmcnt(0)
	v_mfma_f32_32x32x16_f16 v[18:33], a[20:23], v[70:73], v[18:33]
	.loc	1 64 21                         ; attention_bwd.py:64:21 @[ attention_bwd.py:200:26 ]
	global_load_dwordx4 a[16:19], v[66:67], off offset:128
	global_load_dwordx4 a[20:23], v[66:67], off offset:160
	;; [unrolled: 1-line block ×4, first 2 shown]
	.loc	1 48 21                         ; attention_bwd.py:48:21 @[ attention_bwd.py:200:26 ]
	s_waitcnt lgkmcnt(0)
	s_barrier
	s_waitcnt vmcnt(23)
	ds_write_b16 v210, v132
	s_waitcnt vmcnt(21)
	ds_write_b16 v210, v189 offset:1024
	s_waitcnt vmcnt(19)
	ds_write_b16 v210, a33 offset:2048
	;; [unrolled: 2-line block ×3, first 2 shown]
	ds_write_b16 v211, v133 offset:512
	ds_write_b16 v211, a32 offset:1536
	;; [unrolled: 1-line block ×3, first 2 shown]
	s_waitcnt vmcnt(16)
	ds_write_b16 v211, a36 offset:3584
	.loc	1 58 21                         ; attention_bwd.py:58:21 @[ attention_bwd.py:200:26 ]
	s_waitcnt vmcnt(11)
	ds_write_b16 v210, a37 offset:4096
	s_waitcnt vmcnt(7)
	ds_write_b16 v210, v220 offset:6144
	ds_write_b16 v211, a38 offset:4608
	s_waitcnt vmcnt(6)
	ds_write_b16 v211, v221 offset:6656
	;; [unrolled: 3-line block ×4, first 2 shown]
	.loc	1 62 26                         ; attention_bwd.py:62:26 @[ attention_bwd.py:200:26 ]
	v_mfma_f32_32x32x16_f16 v[2:17], v[78:81], v[70:73], v[2:17]
	.loc	1 66 24                         ; attention_bwd.py:66:24 @[ attention_bwd.py:200:26 ]
	v_mfma_f32_32x32x16_f16 v[66:81], v[118:121], v[250:253], 0
	v_mfma_f32_32x32x16_f16 v[66:81], v[128:131], v[246:249], v[66:81]
	v_mfma_f32_32x32x16_f16 v[66:81], v[194:197], v[242:245], v[66:81]
	.loc	1 69 26                         ; attention_bwd.py:69:26 @[ attention_bwd.py:200:26 ]
	v_mov_b32_e32 v196, v190
	v_mov_b32_e32 v197, v191
	;; [unrolled: 1-line block ×4, first 2 shown]
	.loc	1 66 24                         ; attention_bwd.py:66:24 @[ attention_bwd.py:200:26 ]
	v_mfma_f32_32x32x16_f16 v[66:81], v[206:209], v[238:241], v[66:81]
	.loc	1 69 26                         ; attention_bwd.py:69:26 @[ attention_bwd.py:200:26 ]
	v_mov_b32_e32 v206, v126
	v_mov_b32_e32 v207, v127
	.loc	1 67 26                         ; attention_bwd.py:67:26 @[ attention_bwd.py:200:26 ]
	s_nop 9
	v_pk_add_f32 v[66:67], v[66:67], v[138:139] neg_lo:[0,1] neg_hi:[0,1]
	v_pk_add_f32 v[68:69], v[68:69], v[140:141] neg_lo:[0,1] neg_hi:[0,1]
	;; [unrolled: 1-line block ×4, first 2 shown]
	.loc	1 67 20 is_stmt 0               ; attention_bwd.py:67:20 @[ attention_bwd.py:200:26 ]
	v_pk_mul_f32 v[66:67], v[154:155], v[66:67]
	v_pk_mul_f32 v[68:69], v[156:157], v[68:69]
	;; [unrolled: 1-line block ×4, first 2 shown]
	.loc	1 68 21 is_stmt 1               ; attention_bwd.py:68:21 @[ attention_bwd.py:200:26 ]
	v_cvt_pk_f16_f32 v66, v66, v67
	v_cvt_pk_f16_f32 v67, v68, v69
	;; [unrolled: 1-line block ×4, first 2 shown]
	.loc	1 67 26                         ; attention_bwd.py:67:26 @[ attention_bwd.py:200:26 ]
	v_pk_add_f32 v[74:75], v[74:75], v[136:137] neg_lo:[0,1] neg_hi:[0,1]
	v_pk_add_f32 v[76:77], v[76:77], v[146:147] neg_lo:[0,1] neg_hi:[0,1]
	.loc	1 69 26                         ; attention_bwd.py:69:26 @[ attention_bwd.py:200:26 ]
	v_mfma_f32_32x32x16_f16 v[50:65], v[196:199], v[66:69], v[50:65]
	.loc	1 67 26                         ; attention_bwd.py:67:26 @[ attention_bwd.py:200:26 ]
	v_add_f32_e64 v78, v78, -v148
	v_add_f32_e64 v79, v79, -v149
	;; [unrolled: 1-line block ×4, first 2 shown]
	.loc	1 67 20 is_stmt 0               ; attention_bwd.py:67:20 @[ attention_bwd.py:200:26 ]
	v_mul_f32_e64 v74, v162, v74
	v_mul_f32_e64 v75, v163, v75
	v_pk_mul_f32 v[76:77], v[164:165], v[76:77]
	v_pk_mul_f32 v[78:79], v[166:167], v[78:79]
	;; [unrolled: 1-line block ×3, first 2 shown]
	.loc	1 68 21 is_stmt 1               ; attention_bwd.py:68:21 @[ attention_bwd.py:200:26 ]
	v_cvt_pk_f16_f32 v70, v74, v75
	.loc	1 69 26                         ; attention_bwd.py:69:26 @[ attention_bwd.py:200:26 ]
	v_mfma_f32_32x32x16_f16 v[34:49], v[192:195], v[66:69], v[34:49]
	.loc	1 68 21                         ; attention_bwd.py:68:21 @[ attention_bwd.py:200:26 ]
	v_cvt_pk_f16_f32 v71, v76, v77
	v_cvt_pk_f16_f32 v72, v78, v79
	v_cvt_pk_f16_f32 v73, v80, v81
	s_waitcnt vmcnt(3)
	v_accvgpr_read_b32 v138, a16
	v_accvgpr_read_b32 v139, a17
	;; [unrolled: 1-line block ×4, first 2 shown]
	.loc	1 69 26                         ; attention_bwd.py:69:26 @[ attention_bwd.py:200:26 ]
	v_mfma_f32_32x32x16_f16 v[50:65], v[122:125], v[70:73], v[50:65]
	s_waitcnt vmcnt(2)
	v_accvgpr_read_b32 v142, a20
	v_accvgpr_read_b32 v143, a21
	;; [unrolled: 1-line block ×4, first 2 shown]
	s_waitcnt vmcnt(1)
	v_accvgpr_read_b32 v136, a24
	v_accvgpr_read_b32 v137, a25
	;; [unrolled: 1-line block ×3, first 2 shown]
	v_mfma_f32_32x32x16_f16 v[34:49], v[204:207], v[70:73], v[34:49]
	v_accvgpr_read_b32 v147, a27
	s_waitcnt vmcnt(0)
	v_accvgpr_read_b32 v148, a28
	v_accvgpr_read_b32 v149, a29
	;; [unrolled: 1-line block ×20, first 2 shown]
	.loc	1 47 25                         ; attention_bwd.py:47:25 @[ attention_bwd.py:200:26 ]
	s_cbranch_scc1 .LBB0_50
; %bb.51:                               ; %._crit_edge.loopexit
	.loc	1 0 25 is_stmt 0                ; attention_bwd.py:0:25
	v_writelane_b32 v254, s0, 36
	v_xor_b32_e32 v66, 0x110, v183
	v_accvgpr_read_b32 v154, a15
	v_writelane_b32 v254, s1, 37
	v_accvgpr_read_b32 v156, a14
	v_accvgpr_read_b32 v158, a13
	;; [unrolled: 1-line block ×15, first 2 shown]
	s_branch .LBB0_53
.LBB0_52:
	v_writelane_b32 v254, s28, 36
	v_mov_b32_e32 v49, 0
	v_mov_b32_e32 v48, v49
	v_writelane_b32 v254, s29, 37
	v_mov_b32_e32 v47, v49
	v_mov_b32_e32 v46, v49
	;; [unrolled: 1-line block ×62, first 2 shown]
.LBB0_53:                               ; %._crit_edge
	.loc	1 52 24 is_stmt 1               ; attention_bwd.py:52:24 @[ attention_bwd.py:200:26 ]
	s_and_b64 vcc, exec, s[90:91]
	v_add_u32_e32 v221, 0, v183
	v_add_u32_e32 v220, 0, v66
	.loc	1 69 26                         ; attention_bwd.py:69:26 @[ attention_bwd.py:200:26 ]
	s_waitcnt lgkmcnt(0)
	s_barrier
	.loc	1 52 24                         ; attention_bwd.py:52:24 @[ attention_bwd.py:200:26 ]
	s_cbranch_vccnz .LBB0_55
; %bb.54:
	.loc	1 0 0 is_stmt 0                 ; attention_bwd.py:0 @[ attention_bwd.py:200:26 ]
	ds_read_b64_tr_b16 v[84:85], v220
	ds_read_b64_tr_b16 v[82:83], v221
	ds_read_b64_tr_b16 v[86:87], v221 offset:1024
	ds_read_b64_tr_b16 v[90:91], v221 offset:2048
	ds_read_b64_tr_b16 v[94:95], v221 offset:3072
	ds_read_b64_tr_b16 v[88:89], v220 offset:1024
	ds_read_b64_tr_b16 v[92:93], v220 offset:2048
	ds_read_b64_tr_b16 v[96:97], v220 offset:3072
	.loc	1 52 24                         ; attention_bwd.py:52:24 @[ attention_bwd.py:200:26 ]
	s_waitcnt lgkmcnt(6)
	v_mfma_f32_32x32x16_f16 v[66:81], v[82:85], v[226:229], 0
	s_waitcnt lgkmcnt(2)
	v_mfma_f32_32x32x16_f16 v[66:81], v[86:89], v[222:225], v[66:81]
	;; [unrolled: 2-line block ×4, first 2 shown]
	s_branch .LBB0_56
.Ltmp18:
.LBB0_55:
	.loc	1 200 26 is_stmt 1              ; attention_bwd.py:200:26
	v_mov_b32_e32 v66, 0
	v_mov_b32_e32 v67, 0
	;; [unrolled: 1-line block ×16, first 2 shown]
.LBB0_56:
.Ltmp19:
	.loc	1 53 32                         ; attention_bwd.py:53:32 @[ attention_bwd.py:200:26 ]
	s_waitcnt vmcnt(23)
	s_nop 9
	v_sub_f32_e32 v0, v66, v169
	v_sub_f32_e32 v1, v67, v168
	;; [unrolled: 1-line block ×9, first 2 shown]
	s_waitcnt vmcnt(22)
	v_sub_f32_e32 v73, v75, v166
	s_waitcnt vmcnt(21)
	v_sub_f32_e32 v74, v76, v164
	;; [unrolled: 2-line block ×7, first 2 shown]
	.loc	1 53 26 is_stmt 0               ; attention_bwd.py:53:26 @[ attention_bwd.py:200:26 ]
	v_exp_f32_e32 v154, v0
	v_exp_f32_e32 v155, v1
	;; [unrolled: 1-line block ×16, first 2 shown]
	.loc	1 66 24 is_stmt 1               ; attention_bwd.py:66:24 @[ attention_bwd.py:200:26 ]
	s_and_b64 vcc, exec, s[90:91]
	s_cbranch_vccnz .LBB0_58
; %bb.57:
	.loc	1 0 24 is_stmt 0                ; attention_bwd.py:0:24
	v_lshlrev_b32_e32 v66, 5, v178
	v_and_b32_e32 v67, 48, v179
	v_bitop3_b32 v66, v66, v67, v177 bitop3:0x36
	v_xad_u32 v82, v66, v182, 0
	ds_read_b64_tr_b16 v[84:85], v82 offset:4096
	ds_read_b64_tr_b16 v[86:87], v82 offset:5184
	;; [unrolled: 1-line block ×4, first 2 shown]
	.loc	1 62 26 is_stmt 1               ; attention_bwd.py:62:26 @[ attention_bwd.py:200:26 ]
	v_mov_b64_e32 v[80:81], v[16:17]
	.loc	1 61 21                         ; attention_bwd.py:61:21 @[ attention_bwd.py:200:26 ]
	v_cvt_pk_f16_f32 v101, v160, v161
	v_cvt_pk_f16_f32 v100, v158, v159
	;; [unrolled: 1-line block ×4, first 2 shown]
	.loc	1 62 26                         ; attention_bwd.py:62:26 @[ attention_bwd.py:200:26 ]
	v_mov_b64_e32 v[78:79], v[14:15]
	v_mov_b64_e32 v[76:77], v[12:13]
	;; [unrolled: 1-line block ×7, first 2 shown]
	.loc	1 61 21                         ; attention_bwd.py:61:21 @[ attention_bwd.py:200:26 ]
	v_cvt_pk_f16_f32 v105, v164, v165
	v_cvt_pk_f16_f32 v104, v162, v163
	.loc	1 62 26                         ; attention_bwd.py:62:26 @[ attention_bwd.py:200:26 ]
	s_waitcnt lgkmcnt(2)
	v_mfma_f32_32x32x16_f16 v[66:81], v[84:87], v[98:101], v[66:81]
	.loc	1 0 0 is_stmt 0                 ; attention_bwd.py:0 @[ attention_bwd.py:200:26 ]
	ds_read_b64_tr_b16 v[84:85], v82 offset:6144
	ds_read_b64_tr_b16 v[86:87], v82 offset:7232
	;; [unrolled: 1-line block ×4, first 2 shown]
	.loc	1 61 21 is_stmt 1               ; attention_bwd.py:61:21 @[ attention_bwd.py:200:26 ]
	v_cvt_pk_f16_f32 v103, v152, v153
	v_cvt_pk_f16_f32 v102, v0, v1
	.loc	1 66 24                         ; attention_bwd.py:66:24 @[ attention_bwd.py:200:26 ]
	ds_read_b128 v[120:123], v181 offset:4096
	v_xad_u32 v118, v180, 32, 0
	s_movk_i32 s0, 0x60
	.loc	1 62 26                         ; attention_bwd.py:62:26 @[ attention_bwd.py:200:26 ]
	s_waitcnt lgkmcnt(3)
	v_mfma_f32_32x32x16_f16 v[66:81], v[84:87], v[102:105], v[66:81]
	v_mov_b64_e32 v[96:97], v[32:33]
	v_mov_b64_e32 v[94:95], v[30:31]
	;; [unrolled: 1-line block ×8, first 2 shown]
	s_nop 1
	v_mfma_f32_32x32x16_f16 v[82:97], v[106:109], v[98:101], v[82:97]
	s_waitcnt lgkmcnt(1)
	v_mfma_f32_32x32x16_f16 v[82:97], v[110:113], v[102:105], v[82:97]
	.loc	1 66 24                         ; attention_bwd.py:66:24 @[ attention_bwd.py:200:26 ]
	s_waitcnt lgkmcnt(0)
	v_mfma_f32_32x32x16_f16 v[98:113], v[120:123], v[250:253], 0
	ds_read_b128 v[120:123], v118 offset:4096
	v_xad_u32 v118, v180, 64, 0
	s_waitcnt lgkmcnt(0)
	v_mfma_f32_32x32x16_f16 v[98:113], v[120:123], v[246:249], v[98:113]
	ds_read_b128 v[120:123], v118 offset:4096
	v_bitop3_b32 v118, v171, s0, v172 bitop3:0x36
	v_add_u32_e32 v118, 0, v118
	s_waitcnt lgkmcnt(0)
	v_mfma_f32_32x32x16_f16 v[98:113], v[120:123], v[242:245], v[98:113]
	ds_read_b128 v[118:121], v118 offset:4096
	s_waitcnt lgkmcnt(0)
	v_mfma_f32_32x32x16_f16 v[98:113], v[118:121], v[238:241], v[98:113]
	s_branch .LBB0_59
.LBB0_58:
	.loc	1 0 24 is_stmt 0                ; attention_bwd.py:0:24
	v_mov_b32_e32 v112, 0
	v_mov_b32_e32 v66, v2
	;; [unrolled: 1-line block ×48, first 2 shown]
.LBB0_59:
	.loc	1 69 26 is_stmt 1               ; attention_bwd.py:69:26 @[ attention_bwd.py:200:26 ]
	s_and_b64 vcc, exec, s[90:91]
	v_writelane_b32 v254, s90, 38
	v_add_u32_e32 v222, 0, v173
	v_add_u32_e32 v223, 0, v174
	v_add_u32_e32 v224, 0, v175
	v_add_u32_e32 v225, 0, v176
	v_writelane_b32 v254, s91, 39
	s_cbranch_vccnz .LBB0_61
; %bb.60:
	.loc	1 0 26 is_stmt 0                ; attention_bwd.py:0:26
	ds_read2st64_b64 v[10:13], v222 offset1:4
	ds_read2st64_b64 v[16:19], v223 offset1:4
	;; [unrolled: 1-line block ×4, first 2 shown]
	.loc	1 67 26 is_stmt 1               ; attention_bwd.py:67:26 @[ attention_bwd.py:200:26 ]
	s_waitcnt vmcnt(9)
	v_pk_add_f32 v[6:7], v[104:105], v[144:145] neg_lo:[0,1] neg_hi:[0,1]
	.loc	1 69 26                         ; attention_bwd.py:69:26 @[ attention_bwd.py:200:26 ]
	s_waitcnt lgkmcnt(3)
	v_mov_b32_e32 v14, v10
	.loc	1 67 20                         ; attention_bwd.py:67:20 @[ attention_bwd.py:200:26 ]
	v_pk_mul_f32 v[6:7], v[160:161], v[6:7]
	.loc	1 69 26                         ; attention_bwd.py:69:26 @[ attention_bwd.py:200:26 ]
	v_mov_b32_e32 v15, v11
	.loc	1 68 21                         ; attention_bwd.py:68:21 @[ attention_bwd.py:200:26 ]
	v_cvt_pk_f16_f32 v9, v6, v7
	.loc	1 67 26                         ; attention_bwd.py:67:26 @[ attention_bwd.py:200:26 ]
	v_pk_add_f32 v[6:7], v[102:103], v[142:143] neg_lo:[0,1] neg_hi:[0,1]
	s_waitcnt vmcnt(7)
	v_pk_add_f32 v[10:11], v[98:99], v[138:139] neg_lo:[0,1] neg_hi:[0,1]
	.loc	1 67 20 is_stmt 0               ; attention_bwd.py:67:20 @[ attention_bwd.py:200:26 ]
	v_pk_mul_f32 v[6:7], v[158:159], v[6:7]
	v_pk_mul_f32 v[10:11], v[154:155], v[10:11]
	.loc	1 68 21 is_stmt 1               ; attention_bwd.py:68:21 @[ attention_bwd.py:200:26 ]
	v_cvt_pk_f16_f32 v8, v6, v7
	.loc	1 67 26                         ; attention_bwd.py:67:26 @[ attention_bwd.py:200:26 ]
	v_pk_add_f32 v[6:7], v[100:101], v[140:141] neg_lo:[0,1] neg_hi:[0,1]
	s_waitcnt vmcnt(0)
	v_pk_add_f32 v[2:3], v[112:113], v[150:151] neg_lo:[0,1] neg_hi:[0,1]
	.loc	1 67 20 is_stmt 0               ; attention_bwd.py:67:20 @[ attention_bwd.py:200:26 ]
	v_pk_mul_f32 v[6:7], v[156:157], v[6:7]
	v_pk_mul_f32 v[2:3], v[164:165], v[2:3]
	.loc	1 68 21 is_stmt 1               ; attention_bwd.py:68:21 @[ attention_bwd.py:200:26 ]
	v_cvt_pk_f16_f32 v7, v6, v7
	v_cvt_pk_f16_f32 v6, v10, v11
	;; [unrolled: 1-line block ×3, first 2 shown]
	.loc	1 67 26                         ; attention_bwd.py:67:26 @[ attention_bwd.py:200:26 ]
	v_pk_add_f32 v[2:3], v[110:111], v[148:149] neg_lo:[0,1] neg_hi:[0,1]
	.loc	1 69 26                         ; attention_bwd.py:69:26 @[ attention_bwd.py:200:26 ]
	s_waitcnt lgkmcnt(2)
	v_mfma_f32_32x32x16_f16 v[50:65], v[14:17], v[6:9], v[50:65]
	v_mov_b32_e32 v14, v18
	v_mov_b32_e32 v15, v19
	s_waitcnt lgkmcnt(1)
	v_mov_b32_e32 v24, v20
	v_mov_b32_e32 v25, v21
	.loc	1 67 20                         ; attention_bwd.py:67:20 @[ attention_bwd.py:200:26 ]
	v_pk_mul_f32 v[2:3], v[162:163], v[2:3]
	.loc	1 67 26 is_stmt 0               ; attention_bwd.py:67:26 @[ attention_bwd.py:200:26 ]
	v_pk_add_f32 v[10:11], v[106:107], v[136:137] neg_lo:[0,1] neg_hi:[0,1]
	.loc	1 68 21 is_stmt 1               ; attention_bwd.py:68:21 @[ attention_bwd.py:200:26 ]
	v_cvt_pk_f16_f32 v4, v2, v3
	.loc	1 67 26                         ; attention_bwd.py:67:26 @[ attention_bwd.py:200:26 ]
	v_pk_add_f32 v[2:3], v[108:109], v[146:147] neg_lo:[0,1] neg_hi:[0,1]
	.loc	1 69 26                         ; attention_bwd.py:69:26 @[ attention_bwd.py:200:26 ]
	v_mfma_f32_32x32x16_f16 v[34:49], v[12:15], v[6:9], v[34:49]
	.loc	1 67 20                         ; attention_bwd.py:67:20 @[ attention_bwd.py:200:26 ]
	v_mul_f32_e64 v2, v152, v2
	v_mul_f32_e64 v3, v153, v3
	v_mul_f32_e64 v0, v0, v10
	v_mul_f32_e64 v1, v1, v11
	.loc	1 68 21                         ; attention_bwd.py:68:21 @[ attention_bwd.py:200:26 ]
	v_cvt_pk_f16_f32 v3, v2, v3
	v_cvt_pk_f16_f32 v2, v0, v1
	v_mov_b32_e32 v33, v97
	v_mov_b32_e32 v32, v96
	;; [unrolled: 1-line block ×3, first 2 shown]
	.loc	1 69 26                         ; attention_bwd.py:69:26 @[ attention_bwd.py:200:26 ]
	s_waitcnt lgkmcnt(0)
	v_mfma_f32_32x32x16_f16 v[50:65], v[24:27], v[2:5], v[50:65]
	v_mov_b32_e32 v24, v28
	v_mov_b32_e32 v25, v29
	;; [unrolled: 1-line block ×7, first 2 shown]
	v_mfma_f32_32x32x16_f16 v[34:49], v[22:25], v[2:5], v[34:49]
	v_mov_b32_e32 v25, v89
	v_mov_b32_e32 v24, v88
	;; [unrolled: 1-line block ×24, first 2 shown]
.Ltmp20:
.LBB0_61:                               ; %._crit_edge275
	.loc	1 0 26 is_stmt 0                ; attention_bwd.py:0:26
	v_readlane_b32 s0, v254, 0
	v_readlane_b32 s1, v254, 1
	.loc	1 153 10 is_stmt 1              ; attention_bwd.py:153:10
	s_add_u32 s2, s0, s34
	s_addc_u32 s3, s1, s35
	.loc	1 154 10                        ; attention_bwd.py:154:10
	s_add_u32 s4, s30, s34
	s_addc_u32 s5, s31, s35
	.loc	1 165 36                        ; attention_bwd.py:165:36
	s_lshr_b32 s0, s9, 1
	.loc	1 220 20                        ; attention_bwd.py:220:20
	s_add_u32 s30, s14, s76
	s_addc_u32 s31, s15, s77
	s_add_u32 s42, s14, s74
	s_addc_u32 s43, s15, s75
	.loc	1 165 23                        ; attention_bwd.py:165:23
	v_or_b32_e32 v0, s0, v170
	v_readlane_b32 s0, v254, 8
	.loc	1 220 20                        ; attention_bwd.py:220:20
	v_writelane_b32 v254, s20, 40
	s_add_u32 s44, s14, s20
	s_addc_u32 s45, s15, s21
	s_add_u32 s46, s14, s72
	s_addc_u32 s47, s15, s73
	;; [unrolled: 2-line block ×7, first 2 shown]
	v_writelane_b32 v254, s21, 41
	s_add_u32 vcc_lo, s14, s58
	s_addc_u32 vcc_hi, s15, s59
	v_writelane_b32 v254, s58, 42
	s_add_u32 s28, s14, s60
	s_addc_u32 s29, s15, s61
	v_writelane_b32 v254, s59, 43
	v_writelane_b32 v254, s60, 44
	.loc	1 165 23                        ; attention_bwd.py:165:23
	v_or_b32_e32 v0, s0, v0
	.loc	1 220 20                        ; attention_bwd.py:220:20
	s_add_u32 s0, s14, s86
	v_writelane_b32 v254, s61, 45
	s_addc_u32 s1, s15, s87
	v_writelane_b32 v254, s62, 46
	s_add_u32 s58, s14, s64
	s_addc_u32 s59, s15, s65
	v_writelane_b32 v254, s63, 47
	v_writelane_b32 v254, s64, 48
	s_add_u32 s60, s14, s66
	s_addc_u32 s61, s15, s67
	v_writelane_b32 v254, s65, 49
	;; [unrolled: 4-line block ×7, first 2 shown]
	v_writelane_b32 v254, s72, 58
                                        ; implicit-def: $vgpr255 : SGPR spill to VGPR lane
	.loc	1 171 38                        ; attention_bwd.py:171:38
	v_mul_lo_u32 v66, v0, s22
	v_writelane_b32 v255, s84, 0
	v_writelane_b32 v254, s73, 59
	;; [unrolled: 1-line block ×3, first 2 shown]
	.loc	1 220 20                        ; attention_bwd.py:220:20
	s_add_u32 s72, s14, s94
	s_addc_u32 s73, s15, s95
	v_writelane_b32 v254, s83, 61
	v_writelane_b32 v254, s74, 62
	;; [unrolled: 1-line block ×5, first 2 shown]
	s_add_u32 s74, s14, s96
	s_addc_u32 s75, s15, s97
	v_writelane_b32 v255, s77, 3
	s_add_u32 s76, s14, s78
	s_addc_u32 s77, s15, s79
	v_writelane_b32 v254, s78, 0
	.loc	1 204 19                        ; attention_bwd.py:204:19
	v_ashrrev_i32_e32 v67, 31, v66
	v_lshlrev_b64 v[68:69], 1, v[66:67]
	v_writelane_b32 v254, s79, 1
	.loc	1 209 19                        ; attention_bwd.py:209:19
	v_lshl_add_u64 v[156:157], s[2:3], 0, v[68:69]
	v_readlane_b32 s20, v254, 10
	v_readlane_b32 s21, v254, 11
	.loc	1 220 20                        ; attention_bwd.py:220:20
	s_add_u32 s78, s14, s20
	s_addc_u32 s79, s15, s21
	v_readlane_b32 s2, v254, 12
	v_readlane_b32 s3, v254, 13
	s_add_u32 s18, s14, s2
	s_addc_u32 s19, s15, s3
	v_readlane_b32 s82, v254, 14
	v_readlane_b32 s83, v254, 15
	;; [unrolled: 4-line block ×4, first 2 shown]
	s_add_u32 s2, s14, s86
	.loc	1 208 10                        ; attention_bwd.py:208:10
	v_pk_mul_f32 v[154:155], s[8:9], v[64:65] op_sel_hi:[0,1]
	.loc	1 220 20                        ; attention_bwd.py:220:20
	s_addc_u32 s3, s15, s87
	v_readlane_b32 s88, v254, 20
	.loc	1 171 69                        ; attention_bwd.py:171:69
	v_mul_lo_u32 v64, s23, v219
	.loc	1 204 19                        ; attention_bwd.py:204:19
	v_lshl_add_u64 v[152:153], s[4:5], 0, v[68:69]
	v_readlane_b32 s89, v254, 21
	.loc	1 220 20                        ; attention_bwd.py:220:20
	s_add_u32 s4, s14, s88
	.loc	1 220 51 is_stmt 0              ; attention_bwd.py:220:51
	v_lshl_add_u64 v[162:163], s[0:1], 0, v[114:115]
	.loc	1 171 69 is_stmt 1              ; attention_bwd.py:171:69
	v_add_u32_e32 v68, s23, v64
	v_lshl_add_u32 v70, s23, 1, v64
	v_mad_u64_u32 v[72:73], s[0:1], s23, 3, v[64:65]
	v_lshl_add_u32 v74, s23, 2, v64
	v_mad_u64_u32 v[76:77], s[0:1], s23, 5, v[64:65]
	v_mad_u64_u32 v[78:79], s[0:1], s23, 6, v[64:65]
	;; [unrolled: 1-line block ×3, first 2 shown]
	v_lshl_add_u32 v82, s23, 4, v64
	v_mad_u64_u32 v[84:85], s[0:1], s23, 17, v[64:65]
	v_mad_u64_u32 v[86:87], s[0:1], s23, 18, v[64:65]
	;; [unrolled: 1-line block ×3, first 2 shown]
	.loc	1 220 20                        ; attention_bwd.py:220:20
	s_addc_u32 s5, s15, s89
	v_readlane_b32 s90, v254, 22
	.loc	1 171 69                        ; attention_bwd.py:171:69
	v_mad_u64_u32 v[90:91], s[0:1], s23, 20, v[64:65]
	v_mad_u64_u32 v[92:93], s[0:1], s23, 21, v[64:65]
	v_mad_u64_u32 v[94:95], s[0:1], s23, 22, v[64:65]
	v_mad_u64_u32 v[96:97], s[0:1], s23, 23, v[64:65]
	v_lshl_add_u32 v98, s23, 5, v64
	v_mad_u64_u32 v[100:101], s[0:1], s23, 33, v[64:65]
	v_mad_u64_u32 v[102:103], s[0:1], s23, 34, v[64:65]
	;; [unrolled: 1-line block ×7, first 2 shown]
	s_waitcnt vmcnt(6)
	v_mad_u64_u32 v[136:137], s[0:1], s23, 48, v[64:65]
	v_mad_u64_u32 v[138:139], s[0:1], s23, 49, v[64:65]
	;; [unrolled: 1-line block ×5, first 2 shown]
	s_waitcnt vmcnt(4)
	v_mad_u64_u32 v[146:147], s[0:1], s23, 53, v[64:65]
	s_waitcnt vmcnt(2)
	v_mad_u64_u32 v[148:149], s[0:1], s23, 54, v[64:65]
	;; [unrolled: 2-line block ×3, first 2 shown]
	.loc	1 204 50                        ; attention_bwd.py:204:50
	v_ashrrev_i32_e32 v65, 31, v64
	v_ashrrev_i32_e32 v69, 31, v68
	;; [unrolled: 1-line block ×12, first 2 shown]
	v_readlane_b32 s91, v254, 23
	.loc	1 220 20                        ; attention_bwd.py:220:20
	s_add_u32 s6, s14, s90
	.loc	1 204 50                        ; attention_bwd.py:204:50
	v_lshlrev_b64 v[118:119], 1, v[64:65]
	v_lshlrev_b64 v[122:123], 1, v[68:69]
	v_lshlrev_b64 v[228:229], 1, v[70:71]
	v_lshlrev_b64 v[232:233], 1, v[72:73]
	v_lshlrev_b64 v[236:237], 1, v[74:75]
	v_lshlrev_b64 v[240:241], 1, v[76:77]
	v_lshlrev_b64 v[244:245], 1, v[78:79]
	v_lshlrev_b64 v[248:249], 1, v[80:81]
	v_lshlrev_b64 v[252:253], 1, v[82:83]
	v_lshlrev_b64 v[126:127], 1, v[84:85]
	.loc	1 205 22                        ; attention_bwd.py:205:22
	v_cvt_pk_f16_f32 v1, v2, v3
	v_cvt_pk_f16_f32 v103, v4, v5
	;; [unrolled: 1-line block ×8, first 2 shown]
	.loc	1 204 50                        ; attention_bwd.py:204:50
	v_lshlrev_b64 v[4:5], 1, v[86:87]
	v_lshlrev_b64 v[8:9], 1, v[88:89]
	v_ashrrev_i32_e32 v91, 31, v90
	v_ashrrev_i32_e32 v93, 31, v92
	;; [unrolled: 1-line block ×5, first 2 shown]
	.loc	1 220 20                        ; attention_bwd.py:220:20
	s_addc_u32 s7, s15, s91
	v_readlane_b32 s98, v254, 24
	.loc	1 204 50                        ; attention_bwd.py:204:50
	v_lshl_add_u64 v[120:121], v[152:153], 0, v[118:119]
	v_lshl_add_u64 v[226:227], v[152:153], 0, v[122:123]
	;; [unrolled: 1-line block ×11, first 2 shown]
	.loc	1 205 22                        ; attention_bwd.py:205:22
	v_cvt_pk_f16_f32 v130, v18, v19
	v_cvt_pk_f16_f32 v131, v20, v21
	;; [unrolled: 1-line block ×5, first 2 shown]
	.loc	1 204 50                        ; attention_bwd.py:204:50
	v_lshl_add_u64 v[10:11], v[152:153], 0, v[8:9]
	v_lshlrev_b64 v[12:13], 1, v[90:91]
	v_lshlrev_b64 v[16:17], 1, v[92:93]
	;; [unrolled: 1-line block ×3, first 2 shown]
	.loc	1 205 22                        ; attention_bwd.py:205:22
	v_permlane32_swap_b32_e32 v1, v105
	.loc	1 204 50                        ; attention_bwd.py:204:50
	v_lshlrev_b64 v[24:25], 1, v[96:97]
	v_lshlrev_b64 v[28:29], 1, v[98:99]
	.loc	1 205 22                        ; attention_bwd.py:205:22
	v_permlane32_swap_b32_e32 v103, v107
	.loc	1 204 50                        ; attention_bwd.py:204:50
	v_ashrrev_i32_e32 v101, 31, v100
	.loc	1 205 22                        ; attention_bwd.py:205:22
	v_permlane32_swap_b32_e32 v109, v128
	v_permlane32_swap_b32_e32 v113, v129
	.loc	1 208 10                        ; attention_bwd.py:208:10
	v_pk_mul_f32 v[50:51], s[8:9], v[50:51] op_sel_hi:[0,1]
	v_pk_mul_f32 v[52:53], s[8:9], v[52:53] op_sel_hi:[0,1]
	;; [unrolled: 1-line block ×15, first 2 shown]
	v_readlane_b32 s99, v254, 25
	.loc	1 220 20                        ; attention_bwd.py:220:20
	s_add_u32 s8, s14, s98
	.loc	1 205 22                        ; attention_bwd.py:205:22
	v_cvt_pk_f16_f32 v151, v26, v27
	v_cvt_pk_f16_f32 v132, v30, v31
	;; [unrolled: 1-line block ×3, first 2 shown]
	.loc	1 204 50                        ; attention_bwd.py:204:50
	v_lshl_add_u64 v[14:15], v[152:153], 0, v[12:13]
	v_lshl_add_u64 v[18:19], v[152:153], 0, v[16:17]
	;; [unrolled: 1-line block ×3, first 2 shown]
	.loc	1 205 22                        ; attention_bwd.py:205:22
	global_store_short v[120:121], v1, off
	global_store_short_d16_hi v[226:227], v1, off
	.loc	1 204 50                        ; attention_bwd.py:204:50
	v_lshl_add_u64 v[26:27], v[152:153], 0, v[24:25]
	.loc	1 205 22                        ; attention_bwd.py:205:22
	global_store_short v[230:231], v103, off
	.loc	1 204 50                        ; attention_bwd.py:204:50
	v_lshl_add_u64 v[30:31], v[152:153], 0, v[28:29]
	.loc	1 205 22                        ; attention_bwd.py:205:22
	global_store_short_d16_hi v[234:235], v103, off
	.loc	1 204 50                        ; attention_bwd.py:204:50
	v_lshlrev_b64 v[32:33], 1, v[100:101]
	.loc	1 205 22                        ; attention_bwd.py:205:22
	global_store_short v[238:239], v105, off
	.loc	1 204 50                        ; attention_bwd.py:204:50
	v_ashrrev_i32_e32 v103, 31, v102
	.loc	1 205 22                        ; attention_bwd.py:205:22
	global_store_short_d16_hi v[242:243], v105, off
	.loc	1 204 50                        ; attention_bwd.py:204:50
	v_ashrrev_i32_e32 v105, 31, v104
	.loc	1 205 22                        ; attention_bwd.py:205:22
	global_store_short v[246:247], v107, off
	global_store_short_d16_hi v[250:251], v107, off
	.loc	1 204 50                        ; attention_bwd.py:204:50
	v_ashrrev_i32_e32 v107, 31, v106
	.loc	1 205 22                        ; attention_bwd.py:205:22
	global_store_short v[124:125], v109, off
	global_store_short_d16_hi v[2:3], v109, off
	.loc	1 204 50                        ; attention_bwd.py:204:50
	v_ashrrev_i32_e32 v109, 31, v108
	.loc	1 205 22                        ; attention_bwd.py:205:22
	global_store_short v[6:7], v113, off
	.loc	1 204 50                        ; attention_bwd.py:204:50
	v_ashrrev_i32_e32 v111, 31, v110
	.loc	1 205 22                        ; attention_bwd.py:205:22
	global_store_short_d16_hi v[10:11], v113, off
	.loc	1 204 50                        ; attention_bwd.py:204:50
	v_ashrrev_i32_e32 v113, 31, v112
	v_ashrrev_i32_e32 v137, 31, v136
	;; [unrolled: 1-line block ×3, first 2 shown]
	.loc	1 205 22                        ; attention_bwd.py:205:22
	v_permlane32_swap_b32_e32 v130, v147
	.loc	1 220 20                        ; attention_bwd.py:220:20
	s_addc_u32 s9, s15, s99
	v_readlane_b32 s10, v254, 26
	.loc	1 204 50                        ; attention_bwd.py:204:50
	v_lshl_add_u64 v[120:121], v[152:153], 0, v[32:33]
	v_lshlrev_b64 v[226:227], 1, v[102:103]
	v_lshlrev_b64 v[234:235], 1, v[104:105]
	;; [unrolled: 1-line block ×5, first 2 shown]
	.loc	1 205 22                        ; attention_bwd.py:205:22
	global_store_short v[14:15], v128, off
	global_store_short_d16_hi v[18:19], v128, off
	.loc	1 204 50                        ; attention_bwd.py:204:50
	v_lshlrev_b64 v[18:19], 1, v[112:113]
	.loc	1 205 22                        ; attention_bwd.py:205:22
	global_store_short v[22:23], v129, off
	.loc	1 204 50                        ; attention_bwd.py:204:50
	v_lshlrev_b64 v[22:23], 1, v[136:137]
	.loc	1 205 22                        ; attention_bwd.py:205:22
	global_store_short_d16_hi v[26:27], v129, off
	global_store_short v[30:31], v130, off
	.loc	1 204 50                        ; attention_bwd.py:204:50
	v_lshlrev_b64 v[30:31], 1, v[138:139]
	v_writelane_b32 v255, s36, 4
	v_readlane_b32 s11, v254, 27
	.loc	1 220 20                        ; attention_bwd.py:220:20
	s_add_u32 s10, s14, s10
	.loc	1 204 50                        ; attention_bwd.py:204:50
	v_lshl_add_u64 v[230:231], v[152:153], 0, v[226:227]
	v_lshl_add_u64 v[238:239], v[152:153], 0, v[234:235]
	;; [unrolled: 1-line block ×7, first 2 shown]
	.loc	1 205 22                        ; attention_bwd.py:205:22
	global_store_short_d16_hi v[120:121], v130, off
	.loc	1 204 50                        ; attention_bwd.py:204:50
	v_lshl_add_u64 v[120:121], v[152:153], 0, v[30:31]
	v_ashrrev_i32_e32 v141, 31, v140
	.loc	1 205 22                        ; attention_bwd.py:205:22
	v_permlane32_swap_b32_e32 v131, v149
	.loc	1 204 50                        ; attention_bwd.py:204:50
	v_ashrrev_i32_e32 v143, 31, v142
	.loc	1 205 22                        ; attention_bwd.py:205:22
	v_permlane32_swap_b32_e32 v151, v132
	v_writelane_b32 v255, s37, 5
	.loc	1 220 20                        ; attention_bwd.py:220:20
	s_addc_u32 s11, s15, s11
	v_readlane_b32 s36, v254, 28
	.loc	1 204 50                        ; attention_bwd.py:204:50
	v_lshlrev_b64 v[250:251], 1, v[140:141]
	.loc	1 205 22                        ; attention_bwd.py:205:22
	global_store_short v[230:231], v131, off
	global_store_short_d16_hi v[238:239], v131, off
	.loc	1 204 50                        ; attention_bwd.py:204:50
	v_lshlrev_b64 v[238:239], 1, v[142:143]
	.loc	1 205 22                        ; attention_bwd.py:205:22
	global_store_short v[2:3], v147, off
	.loc	1 204 50                        ; attention_bwd.py:204:50
	v_ashrrev_i32_e32 v145, 31, v144
	.loc	1 205 22                        ; attention_bwd.py:205:22
	global_store_short_d16_hi v[6:7], v147, off
	.loc	1 204 50                        ; attention_bwd.py:204:50
	v_ashrrev_i32_e32 v147, 31, v146
	.loc	1 205 22                        ; attention_bwd.py:205:22
	global_store_short v[14:15], v149, off
	global_store_short_d16_hi v[246:247], v149, off
	.loc	1 204 50                        ; attention_bwd.py:204:50
	v_ashrrev_i32_e32 v149, 31, v148
	.loc	1 205 22                        ; attention_bwd.py:205:22
	global_store_short v[26:27], v151, off
	global_store_short_d16_hi v[120:121], v151, off
	.loc	1 204 50                        ; attention_bwd.py:204:50
	v_ashrrev_i32_e32 v151, 31, v150
	v_readlane_b32 s37, v254, 29
	.loc	1 220 20                        ; attention_bwd.py:220:20
	s_add_u32 s14, s14, s36
	.loc	1 204 50                        ; attention_bwd.py:204:50
	v_lshl_add_u64 v[230:231], v[152:153], 0, v[250:251]
	v_lshl_add_u64 v[2:3], v[152:153], 0, v[238:239]
	v_lshlrev_b64 v[6:7], 1, v[144:145]
	v_lshlrev_b64 v[14:15], 1, v[146:147]
	;; [unrolled: 1-line block ×4, first 2 shown]
	.loc	1 205 22                        ; attention_bwd.py:205:22
	v_permlane32_swap_b32_e32 v219, v133
	.loc	1 210 22                        ; attention_bwd.py:210:22
	v_cvt_pk_f16_f32 v1, v50, v51
	v_cvt_pk_f16_f32 v51, v54, v55
	.loc	1 220 20                        ; attention_bwd.py:220:20
	s_addc_u32 s15, s15, s37
	.loc	1 204 50                        ; attention_bwd.py:204:50
	v_lshl_add_u64 v[128:129], v[152:153], 0, v[6:7]
	v_lshl_add_u64 v[246:247], v[152:153], 0, v[14:15]
	;; [unrolled: 1-line block ×4, first 2 shown]
	.loc	1 205 22                        ; attention_bwd.py:205:22
	global_store_short v[230:231], v219, off
	global_store_short_d16_hi v[2:3], v219, off
	global_store_short v[128:129], v132, off
	global_store_short_d16_hi v[246:247], v132, off
	global_store_short v[120:121], v133, off
	global_store_short_d16_hi v[152:153], v133, off
	.loc	1 209 50                        ; attention_bwd.py:209:50
	v_lshl_add_u64 v[2:3], v[156:157], 0, v[118:119]
	v_lshl_add_u64 v[4:5], v[156:157], 0, v[4:5]
	;; [unrolled: 1-line block ×6, first 2 shown]
	.loc	1 210 22                        ; attention_bwd.py:210:22
	v_cvt_pk_f16_f32 v50, v52, v53
	v_cvt_pk_f16_f32 v52, v56, v57
	;; [unrolled: 1-line block ×14, first 2 shown]
	v_permlane32_swap_b32_e32 v1, v51
	.loc	1 220 51                        ; attention_bwd.py:220:51
	v_lshl_add_u64 v[192:193], s[30:31], 0, v[114:115]
	.loc	1 209 50                        ; attention_bwd.py:209:50
	v_lshl_add_u64 v[118:119], v[156:157], 0, v[122:123]
	v_lshl_add_u64 v[120:121], v[156:157], 0, v[228:229]
	;; [unrolled: 1-line block ×26, first 2 shown]
	.loc	1 210 22                        ; attention_bwd.py:210:22
	v_permlane32_swap_b32_e32 v50, v52
	v_permlane32_swap_b32_e32 v53, v55
	;; [unrolled: 1-line block ×7, first 2 shown]
	global_store_short v[2:3], v1, off
	global_store_short_d16_hi v[118:119], v1, off
	global_store_short v[120:121], v50, off
	global_store_short_d16_hi v[122:123], v50, off
	;; [unrolled: 2-line block ×16, first 2 shown]
	.loc	1 220 51                        ; attention_bwd.py:220:51
	v_lshl_add_u64 v[2:3], s[2:3], 0, v[114:115]
	v_lshl_add_u64 v[4:5], s[4:5], 0, v[114:115]
	;; [unrolled: 1-line block ×14, first 2 shown]
	v_lshl_add_u64 v[182:183], vcc, 0, v[114:115]
	v_lshl_add_u64 v[172:173], s[28:29], 0, v[114:115]
	v_lshl_add_u64 v[198:199], s[58:59], 0, v[114:115]
	v_lshl_add_u64 v[186:187], s[60:61], 0, v[114:115]
	v_lshl_add_u64 v[176:177], s[62:63], 0, v[114:115]
	v_lshl_add_u64 v[166:167], s[64:65], 0, v[114:115]
	v_lshl_add_u64 v[200:201], s[66:67], 0, v[114:115]
	v_lshl_add_u64 v[188:189], s[68:69], 0, v[114:115]
	v_lshl_add_u64 v[180:181], s[70:71], 0, v[114:115]
	v_lshl_add_u64 v[168:169], s[72:73], 0, v[114:115]
	v_lshl_add_u64 v[202:203], s[74:75], 0, v[114:115]
	v_lshl_add_u64 v[190:191], s[76:77], 0, v[114:115]
	v_lshl_add_u64 v[184:185], s[78:79], 0, v[114:115]
	v_lshl_add_u64 v[204:205], s[18:19], 0, v[114:115]
	v_lshl_add_u64 v[208:209], s[24:25], 0, v[114:115]
	v_lshl_add_u64 v[206:207], s[26:27], 0, v[114:115]
	.loc	1 220 16 is_stmt 0              ; attention_bwd.py:220:16
	global_load_ushort v1, v[192:193], off
	global_load_ushort v14, v[194:195], off
	global_load_ushort v15, v[196:197], off
	global_load_ushort v16, v[198:199], off
	global_load_ushort v17, v[200:201], off
	global_load_ushort v18, v[202:203], off
	global_load_ushort v19, v[208:209], off
	s_nop 0
	global_load_ushort v6, v[6:7], off
	s_nop 0
	global_load_ushort v7, v[174:175], off
	global_load_ushort v20, v[178:179], off
	global_load_ushort v21, v[182:183], off
	global_load_ushort v22, v[186:187], off
	global_load_ushort v23, v[188:189], off
	global_load_ushort v24, v[190:191], off
	global_load_ushort v25, v[206:207], off
	s_nop 0
	global_load_ushort v8, v[8:9], off
	s_nop 0
	global_load_ushort v9, v[164:165], off
	global_load_ushort v26, v[170:171], off
	;; [unrolled: 1-line block ×6, first 2 shown]
	s_nop 0
	global_load_ushort v2, v[2:3], off
	s_nop 0
	global_load_ushort v3, v[10:11], off
	;; [unrolled: 2-line block ×3, first 2 shown]
	global_load_ushort v11, v[158:159], off
	global_load_ushort v31, v[166:167], off
	;; [unrolled: 1-line block ×5, first 2 shown]
	s_nop 0
	global_load_ushort v12, v[12:13], off
	s_nop 0
	global_load_ushort v4, v[4:5], off
	v_readlane_b32 s0, v255, 2
	v_readlane_b32 s1, v255, 3
	.loc	1 222 22 is_stmt 1              ; attention_bwd.py:222:22
	s_add_u32 s2, s33, s0
	s_addc_u32 s3, s16, s1
	v_readlane_b32 s0, v254, 62
	v_readlane_b32 s1, v254, 63
	s_add_u32 s4, s33, s0
	s_addc_u32 s5, s16, s1
	v_readlane_b32 s0, v254, 40
	v_readlane_b32 s1, v254, 41
	;; [unrolled: 4-line block ×15, first 2 shown]
	s_add_u32 s48, s33, s48
	s_addc_u32 s49, s16, s49
	s_add_u32 s50, s33, s12
	s_addc_u32 s51, s16, s13
	;; [unrolled: 2-line block ×6, first 2 shown]
	v_readlane_b32 s12, v254, 0
	v_readlane_b32 s13, v254, 1
	s_add_u32 s60, s33, s12
	s_addc_u32 s61, s16, s13
	s_add_u32 s62, s33, s20
	s_addc_u32 s63, s16, s21
	v_readlane_b32 s12, v254, 12
	v_readlane_b32 s13, v254, 13
	s_add_u32 s64, s33, s12
	s_addc_u32 s65, s16, s13
	s_add_u32 s66, s33, s82
	s_addc_u32 s67, s16, s83
	;; [unrolled: 2-line block ×7, first 2 shown]
	v_readlane_b32 s12, v254, 26
	v_readlane_b32 s13, v254, 27
	s_add_u32 s40, s33, s12
	s_addc_u32 s41, s16, s13
	s_add_u32 s12, s33, s36
	.loc	1 220 16                        ; attention_bwd.py:220:16
	s_waitcnt lgkmcnt(0)
	s_barrier
	s_waitcnt vmcnt(31)
	ds_write_b16 v210, v1
	s_waitcnt vmcnt(30)
	ds_write_b16 v210, v14 offset:2048
	s_waitcnt vmcnt(29)
	ds_write_b16 v210, v15 offset:4096
	;; [unrolled: 2-line block ×24, first 2 shown]
	ds_write_b16 v217, v10 offset:3584
	s_waitcnt vmcnt(4)
	ds_write_b16 v217, v32 offset:5632
	ds_write_b16 v217, v31 offset:7680
	s_waitcnt vmcnt(2)
	ds_write_b16 v217, v34 offset:9728
	;; [unrolled: 3-line block ×3, first 2 shown]
	ds_write_b16 v217, v12 offset:15872
	.loc	1 222 22                        ; attention_bwd.py:222:22
	s_addc_u32 s13, s16, s37
	.loc	1 222 53 is_stmt 0              ; attention_bwd.py:222:53
	v_lshl_add_u64 v[2:3], s[2:3], 0, v[114:115]
	v_lshl_add_u64 v[4:5], s[4:5], 0, v[114:115]
	;; [unrolled: 1-line block ×16, first 2 shown]
	.loc	1 220 16 is_stmt 1              ; attention_bwd.py:220:16
	s_waitcnt lgkmcnt(0)
	s_barrier
	.loc	1 222 53                        ; attention_bwd.py:222:53
	v_lshl_add_u64 v[34:35], s[50:51], 0, v[114:115]
	v_lshl_add_u64 v[36:37], s[52:53], 0, v[114:115]
	;; [unrolled: 1-line block ×16, first 2 shown]
	.loc	1 222 17 is_stmt 0              ; attention_bwd.py:222:17
	global_load_ushort v1, v[2:3], off
	s_nop 0
	global_load_ushort v2, v[10:11], off
	global_load_ushort v3, v[18:19], off
	s_nop 0
	global_load_ushort v10, v[26:27], off
	global_load_ushort v11, v[34:35], off
	;; [unrolled: 1-line block ×4, first 2 shown]
	s_nop 0
	global_load_ushort v26, v[58:59], off
	s_nop 0
	global_load_ushort v4, v[4:5], off
	;; [unrolled: 2-line block ×4, first 2 shown]
	global_load_ushort v13, v[28:29], off
	s_nop 0
	global_load_ushort v20, v[36:37], off
	global_load_ushort v21, v[44:45], off
	;; [unrolled: 1-line block ×4, first 2 shown]
	s_nop 0
	global_load_ushort v6, v[6:7], off
	s_nop 0
	global_load_ushort v7, v[14:15], off
	;; [unrolled: 2-line block ×3, first 2 shown]
	global_load_ushort v15, v[30:31], off
	s_nop 0
	global_load_ushort v22, v[38:39], off
	global_load_ushort v23, v[46:47], off
	;; [unrolled: 1-line block ×4, first 2 shown]
	s_nop 0
	global_load_ushort v16, v[16:17], off
	s_nop 0
	global_load_ushort v8, v[8:9], off
	;; [unrolled: 2-line block ×3, first 2 shown]
	global_load_ushort v17, v[24:25], off
	s_nop 0
	global_load_ushort v24, v[48:49], off
	global_load_ushort v25, v[40:41], off
	;; [unrolled: 1-line block ×4, first 2 shown]
	.loc	1 220 16 is_stmt 1              ; attention_bwd.py:220:16
	ds_read_b128 v[180:183], v212
	ds_read_b128 v[184:187], v213
	ds_read_b128 v[176:179], v214
	ds_read_b128 v[172:175], v215
	v_readlane_b32 s6, v254, 38
	v_readlane_b32 s7, v254, 39
	.loc	1 222 17                        ; attention_bwd.py:222:17
	s_waitcnt lgkmcnt(0)
	s_barrier
	s_waitcnt vmcnt(31)
	ds_write_b16 v210, v1
	s_waitcnt vmcnt(30)
	ds_write_b16 v210, v2 offset:2048
	s_waitcnt vmcnt(29)
	ds_write_b16 v210, v3 offset:4096
	;; [unrolled: 2-line block ×24, first 2 shown]
	ds_write_b16 v217, v16 offset:3584
	s_waitcnt vmcnt(4)
	ds_write_b16 v217, v17 offset:5632
	ds_write_b16 v217, v9 offset:7680
	s_waitcnt vmcnt(2)
	ds_write_b16 v217, v25 offset:9728
	;; [unrolled: 3-line block ×3, first 2 shown]
	ds_write_b16 v217, v31 offset:15872
.Ltmp21:
	.loc	1 102 21                        ; attention_bwd.py:102:21 @[ attention_bwd.py:253:40 ]
	s_and_b64 vcc, exec, s[6:7]
	.loc	1 93 18                         ; attention_bwd.py:93:18 @[ attention_bwd.py:253:40 ]
	v_lshl_add_u64 v[2:3], v[116:117], 1, s[38:39]
.Ltmp22:
	.loc	1 222 17                        ; attention_bwd.py:222:17
	s_waitcnt lgkmcnt(0)
	s_barrier
.Ltmp23:
	.loc	1 102 21                        ; attention_bwd.py:102:21 @[ attention_bwd.py:253:40 ]
	s_cbranch_vccnz .LBB0_77
; %bb.62:
	.loc	1 0 21 is_stmt 0                ; attention_bwd.py:0:21
	v_accvgpr_read_b32 v4, a44
	v_accvgpr_read_b32 v5, a45
	.loc	1 93 49 is_stmt 1               ; attention_bwd.py:93:49 @[ attention_bwd.py:253:40 ]
	v_lshl_add_u64 v[4:5], v[4:5], 1, v[2:3]
	.loc	1 102 21                        ; attention_bwd.py:102:21 @[ attention_bwd.py:253:40 ]
	global_load_ushort v6, v[4:5], off
	s_and_b64 vcc, exec, s[6:7]
	s_cbranch_vccz .LBB0_78
.LBB0_63:
	.loc	1 0 21 is_stmt 0                ; attention_bwd.py:0:21
	v_mov_b32_e32 v7, 0
	.loc	1 102 21                        ; attention_bwd.py:102:21 @[ attention_bwd.py:253:40 ]
	s_and_b64 vcc, exec, s[6:7]
	s_cbranch_vccz .LBB0_79
.LBB0_64:
	.loc	1 0 21                          ; attention_bwd.py:0:21
	v_mov_b32_e32 v8, 0
	.loc	1 102 21                        ; attention_bwd.py:102:21 @[ attention_bwd.py:253:40 ]
	s_and_b64 vcc, exec, s[6:7]
	s_cbranch_vccz .LBB0_80
.LBB0_65:
	.loc	1 0 21                          ; attention_bwd.py:0:21
	v_mov_b32_e32 v9, 0
	.loc	1 102 21                        ; attention_bwd.py:102:21 @[ attention_bwd.py:253:40 ]
	s_and_b64 vcc, exec, s[6:7]
	s_cbranch_vccz .LBB0_81
.LBB0_66:
	.loc	1 0 21                          ; attention_bwd.py:0:21
	v_mov_b32_e32 v10, 0
	.loc	1 102 21                        ; attention_bwd.py:102:21 @[ attention_bwd.py:253:40 ]
	s_and_b64 vcc, exec, s[6:7]
	s_cbranch_vccz .LBB0_82
.LBB0_67:
	.loc	1 0 21                          ; attention_bwd.py:0:21
	v_mov_b32_e32 v11, 0
	.loc	1 102 21                        ; attention_bwd.py:102:21 @[ attention_bwd.py:253:40 ]
	s_and_b64 vcc, exec, s[6:7]
	s_cbranch_vccz .LBB0_83
.LBB0_68:
	.loc	1 0 21                          ; attention_bwd.py:0:21
	v_mov_b32_e32 v12, 0
	.loc	1 102 21                        ; attention_bwd.py:102:21 @[ attention_bwd.py:253:40 ]
	s_and_b64 vcc, exec, s[6:7]
	s_cbranch_vccz .LBB0_84
.LBB0_69:
	.loc	1 0 21                          ; attention_bwd.py:0:21
	v_mov_b32_e32 v13, 0
	.loc	1 103 21 is_stmt 1              ; attention_bwd.py:103:21 @[ attention_bwd.py:253:40 ]
	s_and_b64 vcc, exec, s[6:7]
	.loc	1 94 18                         ; attention_bwd.py:94:18 @[ attention_bwd.py:253:40 ]
	v_lshl_add_u64 v[2:3], v[116:117], 1, s[80:81]
	.loc	1 103 21                        ; attention_bwd.py:103:21 @[ attention_bwd.py:253:40 ]
	s_cbranch_vccz .LBB0_85
.LBB0_70:
	.loc	1 0 21 is_stmt 0                ; attention_bwd.py:0:21
	v_mov_b32_e32 v14, 0
	.loc	1 103 21                        ; attention_bwd.py:103:21 @[ attention_bwd.py:253:40 ]
	s_and_b64 vcc, exec, s[6:7]
	s_cbranch_vccz .LBB0_86
.LBB0_71:
	.loc	1 0 21                          ; attention_bwd.py:0:21
	v_mov_b32_e32 v15, 0
	.loc	1 103 21                        ; attention_bwd.py:103:21 @[ attention_bwd.py:253:40 ]
	s_and_b64 vcc, exec, s[6:7]
	s_cbranch_vccz .LBB0_87
.LBB0_72:
	.loc	1 0 21                          ; attention_bwd.py:0:21
	v_mov_b32_e32 v16, 0
	.loc	1 103 21                        ; attention_bwd.py:103:21 @[ attention_bwd.py:253:40 ]
	s_and_b64 vcc, exec, s[6:7]
	s_cbranch_vccz .LBB0_88
.LBB0_73:
	.loc	1 0 21                          ; attention_bwd.py:0:21
	v_mov_b32_e32 v17, 0
	.loc	1 103 21                        ; attention_bwd.py:103:21 @[ attention_bwd.py:253:40 ]
	s_and_b64 vcc, exec, s[6:7]
	s_cbranch_vccz .LBB0_89
.LBB0_74:
	.loc	1 0 21                          ; attention_bwd.py:0:21
	v_mov_b32_e32 v18, 0
	.loc	1 103 21                        ; attention_bwd.py:103:21 @[ attention_bwd.py:253:40 ]
	s_and_b64 vcc, exec, s[6:7]
	v_ashrrev_i32_e32 v1, 31, v0
	s_cbranch_vccz .LBB0_90
.LBB0_75:
	.loc	1 0 21                          ; attention_bwd.py:0:21
	v_mov_b32_e32 v19, 0
	.loc	1 103 21                        ; attention_bwd.py:103:21 @[ attention_bwd.py:253:40 ]
	s_and_b64 vcc, exec, s[6:7]
	s_cbranch_vccz .LBB0_91
.LBB0_76:
	.loc	1 0 21                          ; attention_bwd.py:0:21
	v_mov_b32_e32 v20, 0
	.loc	1 103 21                        ; attention_bwd.py:103:21 @[ attention_bwd.py:253:40 ]
	s_branch .LBB0_92
.LBB0_77:
	.loc	1 0 21                          ; attention_bwd.py:0:21
	v_mov_b32_e32 v6, 0
	.loc	1 102 21 is_stmt 1              ; attention_bwd.py:102:21 @[ attention_bwd.py:253:40 ]
	s_and_b64 vcc, exec, s[6:7]
	s_cbranch_vccnz .LBB0_63
.LBB0_78:
	.loc	1 0 21 is_stmt 0                ; attention_bwd.py:0:21
	v_accvgpr_read_b32 v4, a46
	v_accvgpr_read_b32 v5, a47
	.loc	1 93 49 is_stmt 1               ; attention_bwd.py:93:49 @[ attention_bwd.py:253:40 ]
	v_lshl_add_u64 v[4:5], v[4:5], 1, v[2:3]
	.loc	1 102 21                        ; attention_bwd.py:102:21 @[ attention_bwd.py:253:40 ]
	global_load_ushort v7, v[4:5], off
	s_and_b64 vcc, exec, s[6:7]
	s_cbranch_vccnz .LBB0_64
.LBB0_79:
	.loc	1 0 21 is_stmt 0                ; attention_bwd.py:0:21
	v_accvgpr_read_b32 v4, a48
	v_accvgpr_read_b32 v5, a49
	.loc	1 93 49 is_stmt 1               ; attention_bwd.py:93:49 @[ attention_bwd.py:253:40 ]
	v_lshl_add_u64 v[4:5], v[4:5], 1, v[2:3]
	.loc	1 102 21                        ; attention_bwd.py:102:21 @[ attention_bwd.py:253:40 ]
	global_load_ushort v8, v[4:5], off
	s_and_b64 vcc, exec, s[6:7]
	s_cbranch_vccnz .LBB0_65
.LBB0_80:
	.loc	1 0 21 is_stmt 0                ; attention_bwd.py:0:21
	v_accvgpr_read_b32 v4, a50
	v_accvgpr_read_b32 v5, a51
	.loc	1 93 49 is_stmt 1               ; attention_bwd.py:93:49 @[ attention_bwd.py:253:40 ]
	v_lshl_add_u64 v[4:5], v[4:5], 1, v[2:3]
	.loc	1 102 21                        ; attention_bwd.py:102:21 @[ attention_bwd.py:253:40 ]
	global_load_ushort v9, v[4:5], off
	s_and_b64 vcc, exec, s[6:7]
	s_cbranch_vccnz .LBB0_66
.LBB0_81:
	.loc	1 0 21 is_stmt 0                ; attention_bwd.py:0:21
	v_accvgpr_read_b32 v4, a52
	v_accvgpr_read_b32 v5, a53
	.loc	1 93 49 is_stmt 1               ; attention_bwd.py:93:49 @[ attention_bwd.py:253:40 ]
	v_lshl_add_u64 v[4:5], v[4:5], 1, v[2:3]
	.loc	1 102 21                        ; attention_bwd.py:102:21 @[ attention_bwd.py:253:40 ]
	global_load_ushort v10, v[4:5], off
	s_and_b64 vcc, exec, s[6:7]
	s_cbranch_vccnz .LBB0_67
.LBB0_82:
	.loc	1 0 21 is_stmt 0                ; attention_bwd.py:0:21
	v_accvgpr_read_b32 v4, a54
	v_accvgpr_read_b32 v5, a55
	.loc	1 93 49 is_stmt 1               ; attention_bwd.py:93:49 @[ attention_bwd.py:253:40 ]
	v_lshl_add_u64 v[4:5], v[4:5], 1, v[2:3]
	.loc	1 102 21                        ; attention_bwd.py:102:21 @[ attention_bwd.py:253:40 ]
	global_load_ushort v11, v[4:5], off
	s_and_b64 vcc, exec, s[6:7]
	s_cbranch_vccnz .LBB0_68
.LBB0_83:
	.loc	1 0 21 is_stmt 0                ; attention_bwd.py:0:21
	v_accvgpr_read_b32 v4, a56
	v_accvgpr_read_b32 v5, a57
	.loc	1 93 49 is_stmt 1               ; attention_bwd.py:93:49 @[ attention_bwd.py:253:40 ]
	v_lshl_add_u64 v[4:5], v[4:5], 1, v[2:3]
	.loc	1 102 21                        ; attention_bwd.py:102:21 @[ attention_bwd.py:253:40 ]
	global_load_ushort v12, v[4:5], off
	s_and_b64 vcc, exec, s[6:7]
	s_cbranch_vccnz .LBB0_69
.LBB0_84:
	.loc	1 0 21 is_stmt 0                ; attention_bwd.py:0:21
	v_accvgpr_read_b32 v4, a58
	v_accvgpr_read_b32 v5, a59
	.loc	1 93 49 is_stmt 1               ; attention_bwd.py:93:49 @[ attention_bwd.py:253:40 ]
	v_lshl_add_u64 v[2:3], v[4:5], 1, v[2:3]
	.loc	1 102 21                        ; attention_bwd.py:102:21 @[ attention_bwd.py:253:40 ]
	global_load_ushort v13, v[2:3], off
	.loc	1 103 21                        ; attention_bwd.py:103:21 @[ attention_bwd.py:253:40 ]
	s_and_b64 vcc, exec, s[6:7]
	.loc	1 94 18                         ; attention_bwd.py:94:18 @[ attention_bwd.py:253:40 ]
	v_lshl_add_u64 v[2:3], v[116:117], 1, s[80:81]
	.loc	1 103 21                        ; attention_bwd.py:103:21 @[ attention_bwd.py:253:40 ]
	s_cbranch_vccnz .LBB0_70
.LBB0_85:
	.loc	1 0 21 is_stmt 0                ; attention_bwd.py:0:21
	v_accvgpr_read_b32 v4, a44
	v_accvgpr_read_b32 v5, a45
	.loc	1 94 49 is_stmt 1               ; attention_bwd.py:94:49 @[ attention_bwd.py:253:40 ]
	v_lshl_add_u64 v[4:5], v[4:5], 1, v[2:3]
	.loc	1 103 21                        ; attention_bwd.py:103:21 @[ attention_bwd.py:253:40 ]
	global_load_ushort v14, v[4:5], off
	s_and_b64 vcc, exec, s[6:7]
	s_cbranch_vccnz .LBB0_71
.LBB0_86:
	.loc	1 0 21 is_stmt 0                ; attention_bwd.py:0:21
	v_accvgpr_read_b32 v4, a46
	v_accvgpr_read_b32 v5, a47
	.loc	1 94 49 is_stmt 1               ; attention_bwd.py:94:49 @[ attention_bwd.py:253:40 ]
	v_lshl_add_u64 v[4:5], v[4:5], 1, v[2:3]
	.loc	1 103 21                        ; attention_bwd.py:103:21 @[ attention_bwd.py:253:40 ]
	global_load_ushort v15, v[4:5], off
	s_and_b64 vcc, exec, s[6:7]
	s_cbranch_vccnz .LBB0_72
.LBB0_87:
	.loc	1 0 21 is_stmt 0                ; attention_bwd.py:0:21
	v_accvgpr_read_b32 v4, a48
	v_accvgpr_read_b32 v5, a49
	.loc	1 94 49 is_stmt 1               ; attention_bwd.py:94:49 @[ attention_bwd.py:253:40 ]
	v_lshl_add_u64 v[4:5], v[4:5], 1, v[2:3]
	.loc	1 103 21                        ; attention_bwd.py:103:21 @[ attention_bwd.py:253:40 ]
	global_load_ushort v16, v[4:5], off
	s_and_b64 vcc, exec, s[6:7]
	s_cbranch_vccnz .LBB0_73
.LBB0_88:
	.loc	1 0 21 is_stmt 0                ; attention_bwd.py:0:21
	v_accvgpr_read_b32 v4, a50
	v_accvgpr_read_b32 v5, a51
	.loc	1 94 49 is_stmt 1               ; attention_bwd.py:94:49 @[ attention_bwd.py:253:40 ]
	v_lshl_add_u64 v[4:5], v[4:5], 1, v[2:3]
	.loc	1 103 21                        ; attention_bwd.py:103:21 @[ attention_bwd.py:253:40 ]
	global_load_ushort v17, v[4:5], off
	s_and_b64 vcc, exec, s[6:7]
	s_cbranch_vccnz .LBB0_74
.LBB0_89:
	.loc	1 0 21 is_stmt 0                ; attention_bwd.py:0:21
	v_accvgpr_read_b32 v4, a52
	v_accvgpr_read_b32 v5, a53
	.loc	1 94 49 is_stmt 1               ; attention_bwd.py:94:49 @[ attention_bwd.py:253:40 ]
	v_lshl_add_u64 v[4:5], v[4:5], 1, v[2:3]
	.loc	1 103 21                        ; attention_bwd.py:103:21 @[ attention_bwd.py:253:40 ]
	global_load_ushort v18, v[4:5], off
	s_and_b64 vcc, exec, s[6:7]
	v_ashrrev_i32_e32 v1, 31, v0
	s_cbranch_vccnz .LBB0_75
.LBB0_90:
	.loc	1 0 21 is_stmt 0                ; attention_bwd.py:0:21
	v_accvgpr_read_b32 v4, a54
	v_accvgpr_read_b32 v5, a55
	.loc	1 94 49 is_stmt 1               ; attention_bwd.py:94:49 @[ attention_bwd.py:253:40 ]
	v_lshl_add_u64 v[4:5], v[4:5], 1, v[2:3]
	.loc	1 103 21                        ; attention_bwd.py:103:21 @[ attention_bwd.py:253:40 ]
	global_load_ushort v19, v[4:5], off
	s_and_b64 vcc, exec, s[6:7]
	s_cbranch_vccnz .LBB0_76
.LBB0_91:
	.loc	1 0 21 is_stmt 0                ; attention_bwd.py:0:21
	v_accvgpr_read_b32 v4, a56
	v_accvgpr_read_b32 v5, a57
	.loc	1 94 49 is_stmt 1               ; attention_bwd.py:94:49 @[ attention_bwd.py:253:40 ]
	v_lshl_add_u64 v[4:5], v[4:5], 1, v[2:3]
	.loc	1 103 21                        ; attention_bwd.py:103:21 @[ attention_bwd.py:253:40 ]
	global_load_ushort v20, v[4:5], off
.LBB0_92:
	.loc	1 0 21 is_stmt 0                ; attention_bwd.py:0:21
	v_readlane_b32 s0, v254, 30
	v_readlane_b32 s1, v254, 31
	.loc	1 103 21                        ; attention_bwd.py:103:21 @[ attention_bwd.py:253:40 ]
	s_and_b64 vcc, exec, s[6:7]
	s_nop 0
	v_lshl_add_u64 v[4:5], v[0:1], 2, s[0:1]
	s_cbranch_vccnz .LBB0_94
; %bb.93:
	.loc	1 0 21                          ; attention_bwd.py:0:21
	v_accvgpr_read_b32 v22, a58
	v_accvgpr_read_b32 v23, a59
	.loc	1 94 49 is_stmt 1               ; attention_bwd.py:94:49 @[ attention_bwd.py:253:40 ]
	v_lshl_add_u64 v[2:3], v[22:23], 1, v[2:3]
	.loc	1 103 21                        ; attention_bwd.py:103:21 @[ attention_bwd.py:253:40 ]
	global_load_ushort v2, v[2:3], off
	s_branch .LBB0_95
.LBB0_94:
	.loc	1 0 21 is_stmt 0                ; attention_bwd.py:0:21
	v_mov_b32_e32 v2, 0
.LBB0_95:
	.loc	1 96 21 is_stmt 1               ; attention_bwd.py:96:21 @[ attention_bwd.py:253:40 ]
	v_readlane_b32 s0, v254, 32
	v_readlane_b32 s1, v254, 33
	global_load_dword v170, v[4:5], off
	ds_read_b128 v[200:203], v212
	ds_read_b128 v[196:199], v213
	;; [unrolled: 1-line block ×4, first 2 shown]
	v_lshl_add_u64 v[0:1], v[0:1], 2, s[0:1]
	.loc	1 96 17 is_stmt 0               ; attention_bwd.py:96:17 @[ attention_bwd.py:253:40 ]
	global_load_dword v114, v[0:1], off
	.loc	1 101 25 is_stmt 1              ; attention_bwd.py:101:25 @[ attention_bwd.py:253:40 ]
	v_readlane_b32 s0, v254, 34
	v_readlane_b32 s1, v254, 35
	s_andn2_b64 vcc, exec, s[0:1]
	.loc	1 102 21                        ; attention_bwd.py:102:21 @[ attention_bwd.py:253:40 ]
	s_waitcnt lgkmcnt(0)
	s_barrier
	s_waitcnt vmcnt(2)
	ds_write_b16 v210, v6
	ds_write_b16 v210, v8 offset:1024
	ds_write_b16 v210, v10 offset:2048
	;; [unrolled: 1-line block ×7, first 2 shown]
	.loc	1 103 21                        ; attention_bwd.py:103:21 @[ attention_bwd.py:253:40 ]
	ds_write_b16 v210, v14 offset:4096
	ds_write_b16 v210, v16 offset:5120
	;; [unrolled: 1-line block ×8, first 2 shown]
	.loc	1 101 25                        ; attention_bwd.py:101:25 @[ attention_bwd.py:253:40 ]
	s_cbranch_vccnz .LBB0_98
; %bb.96:                               ; %.lr.ph234
	.loc	1 0 25 is_stmt 0                ; attention_bwd.py:0:25
	v_readlane_b32 s0, v254, 36
	.loc	1 101 25                        ; attention_bwd.py:101:25 @[ attention_bwd.py:253:40 ]
	v_add_u32_e32 v0, 56, v218
	v_or_b32_e32 v2, 48, v218
	v_add_u32_e32 v4, 40, v218
	v_or_b32_e32 v6, 32, v218
	v_add_u32_e32 v8, 24, v218
	v_or_b32_e32 v10, 16, v218
	v_add_u32_e32 v12, 8, v218
	v_readlane_b32 s1, v254, 37
	v_mul_lo_u32 v0, s23, v0
	v_mul_lo_u32 v2, s23, v2
	;; [unrolled: 1-line block ×8, first 2 shown]
	s_ashr_i32 s1, s0, 31
	v_ashrrev_i32_e32 v1, 31, v0
	v_ashrrev_i32_e32 v3, 31, v2
	;; [unrolled: 1-line block ×8, first 2 shown]
	v_lshl_add_u64 v[0:1], v[0:1], 1, v[134:135]
	s_lshl_b64 s[0:1], s[0:1], 1
	v_readlane_b32 s4, v254, 6
	v_lshl_add_u64 v[2:3], v[2:3], 1, v[134:135]
	v_lshl_add_u64 v[4:5], v[4:5], 1, v[134:135]
	;; [unrolled: 1-line block ×8, first 2 shown]
	v_readlane_b32 s5, v254, 7
	v_lshl_add_u64 v[2:3], v[2:3], 0, s[0:1]
	v_lshl_add_u64 v[4:5], v[4:5], 0, s[0:1]
	;; [unrolled: 1-line block ×15, first 2 shown]
	v_readlane_b32 s4, v254, 4
	v_readlane_b32 s5, v254, 5
	s_max_i32 s2, s17, 1
	.loc	1 113 23 is_stmt 1              ; attention_bwd.py:113:23 @[ attention_bwd.py:253:40 ]
	s_waitcnt vmcnt(0)
	v_mov_b32_e32 v115, v114
	.loc	1 101 25                        ; attention_bwd.py:101:25 @[ attention_bwd.py:253:40 ]
	v_lshl_add_u64 v[132:133], s[4:5], 0, v[0:1]
	v_mov_b32_e32 v0, 0
	v_lshl_add_u64 v[134:135], s[4:5], 0, v[2:3]
	v_lshl_add_u64 v[152:153], s[4:5], 0, v[4:5]
	;; [unrolled: 1-line block ×7, first 2 shown]
	v_mov_b32_e32 v1, v0
	v_mov_b32_e32 v2, v0
	;; [unrolled: 1-line block ×31, first 2 shown]
.LBB0_97:                               ; =>This Inner Loop Header: Depth=1
	.loc	1 120 19                        ; attention_bwd.py:120:19 @[ attention_bwd.py:253:40 ]
	v_lshl_add_u64 v[32:33], v[162:163], 0, s[34:35]
	v_lshl_add_u64 v[34:35], v[160:161], 0, s[34:35]
	;; [unrolled: 1-line block ×7, first 2 shown]
	.loc	1 121 19                        ; attention_bwd.py:121:19 @[ attention_bwd.py:253:40 ]
	v_lshl_add_u64 v[46:47], v[132:133], 0, s[34:35]
	.loc	1 102 21                        ; attention_bwd.py:102:21 @[ attention_bwd.py:253:40 ]
	global_load_ushort v252, v[32:33], off
	global_load_ushort v253, v[34:35], off
	;; [unrolled: 1-line block ×8, first 2 shown]
	.loc	1 117 25                        ; attention_bwd.py:117:25 @[ attention_bwd.py:253:40 ]
	s_waitcnt lgkmcnt(0)
	s_barrier
	.loc	1 102 21                        ; attention_bwd.py:102:21 @[ attention_bwd.py:253:40 ]
	ds_read_b64_tr_b16 v[50:51], v220
	ds_read_b64_tr_b16 v[48:49], v221
	ds_read_b64_tr_b16 v[216:217], v221 offset:1024
	ds_read_b64_tr_b16 v[226:227], v221 offset:2048
	;; [unrolled: 1-line block ×6, first 2 shown]
	.loc	1 103 21                        ; attention_bwd.py:103:21 @[ attention_bwd.py:253:40 ]
	ds_read_b64_tr_b16 v[206:207], v220 offset:4096
	.loc	1 104 23                        ; attention_bwd.py:104:23 @[ attention_bwd.py:253:40 ]
	s_waitcnt lgkmcnt(7)
	v_mfma_f32_32x32x16_f16 v[32:47], v[48:51], v[180:183], 0
	.loc	1 103 21                        ; attention_bwd.py:103:21 @[ attention_bwd.py:253:40 ]
	ds_read_b64_tr_b16 v[204:205], v221 offset:4096
	ds_read_b64_tr_b16 v[234:235], v221 offset:5120
	ds_read_b64_tr_b16 v[248:249], v221 offset:6144
	ds_read_b64_tr_b16 a[0:1], v221 offset:7168
	ds_read_b64_tr_b16 v[236:237], v220 offset:5120
	ds_read_b64_tr_b16 v[250:251], v220 offset:6144
	ds_read_b64_tr_b16 a[2:3], v220 offset:7168
	.loc	1 121 19                        ; attention_bwd.py:121:19 @[ attention_bwd.py:253:40 ]
	v_lshl_add_u64 v[166:167], v[130:131], 0, s[34:35]
	v_lshl_add_u64 v[164:165], v[126:127], 0, s[34:35]
	.loc	1 102 21                        ; attention_bwd.py:102:21 @[ attention_bwd.py:253:40 ]
	v_lshl_add_u64 v[214:215], v[116:117], 0, s[34:35]
	.loc	1 121 19                        ; attention_bwd.py:121:19 @[ attention_bwd.py:253:40 ]
	v_lshl_add_u64 v[168:169], v[128:129], 0, s[34:35]
	v_lshl_add_u64 v[208:209], v[120:121], 0, s[34:35]
	;; [unrolled: 1-line block ×3, first 2 shown]
	.loc	1 112 24                        ; attention_bwd.py:112:24 @[ attention_bwd.py:253:40 ]
	s_waitcnt lgkmcnt(6)
	v_mfma_f32_32x32x16_f16 v[48:63], v[204:207], v[200:203], 0
	.loc	1 121 19                        ; attention_bwd.py:121:19 @[ attention_bwd.py:253:40 ]
	v_lshl_add_u64 v[204:205], v[124:125], 0, s[34:35]
	v_lshl_add_u64 v[206:207], v[122:123], 0, s[34:35]
	.loc	1 101 25                        ; attention_bwd.py:101:25 @[ attention_bwd.py:253:40 ]
	s_add_i32 s2, s2, -1
	v_lshl_add_u64 v[116:117], v[116:117], 0, s[0:1]
	v_lshl_add_u64 v[118:119], v[118:119], 0, s[0:1]
	;; [unrolled: 1-line block ×4, first 2 shown]
	.loc	1 112 24                        ; attention_bwd.py:112:24 @[ attention_bwd.py:253:40 ]
	s_waitcnt lgkmcnt(2)
	v_mfma_f32_32x32x16_f16 v[48:63], v[234:237], v[196:199], v[48:63]
	.loc	1 101 25                        ; attention_bwd.py:101:25 @[ attention_bwd.py:253:40 ]
	v_lshl_add_u64 v[124:125], v[124:125], 0, s[0:1]
	v_lshl_add_u64 v[126:127], v[126:127], 0, s[0:1]
	v_lshl_add_u64 v[128:129], v[128:129], 0, s[0:1]
	v_lshl_add_u64 v[130:131], v[130:131], 0, s[0:1]
	v_lshl_add_u64 v[132:133], v[132:133], 0, s[0:1]
	v_lshl_add_u64 v[134:135], v[134:135], 0, s[0:1]
	v_lshl_add_u64 v[152:153], v[152:153], 0, s[0:1]
	.loc	1 104 23                        ; attention_bwd.py:104:23 @[ attention_bwd.py:253:40 ]
	v_mfma_f32_32x32x16_f16 v[32:47], v[216:219], v[184:187], v[32:47]
	.loc	1 103 21                        ; attention_bwd.py:103:21 @[ attention_bwd.py:253:40 ]
	global_load_ushort v216, v[166:167], off
	global_load_ushort v217, v[168:169], off
	.loc	1 101 25                        ; attention_bwd.py:101:25 @[ attention_bwd.py:253:40 ]
	v_lshl_add_u64 v[154:155], v[154:155], 0, s[0:1]
	v_lshl_add_u64 v[156:157], v[156:157], 0, s[0:1]
	v_lshl_add_u64 v[158:159], v[158:159], 0, s[0:1]
	v_lshl_add_u64 v[160:161], v[160:161], 0, s[0:1]
	v_lshl_add_u64 v[162:163], v[162:163], 0, s[0:1]
	s_cmp_lg_u32 s2, 0
	.loc	1 112 24                        ; attention_bwd.py:112:24 @[ attention_bwd.py:253:40 ]
	s_waitcnt lgkmcnt(1)
	v_mfma_f32_32x32x16_f16 v[48:63], v[248:251], v[192:195], v[48:63]
	.loc	1 103 21                        ; attention_bwd.py:103:21 @[ attention_bwd.py:253:40 ]
	global_load_ushort v218, v[164:165], off
	global_load_ushort v219, v[204:205], off
	;; [unrolled: 1-line block ×5, first 2 shown]
	s_nop 0
	global_load_ushort v215, v[214:215], off
	.loc	1 104 23                        ; attention_bwd.py:104:23 @[ attention_bwd.py:253:40 ]
	v_mfma_f32_32x32x16_f16 v[32:47], v[226:229], v[176:179], v[32:47]
	.loc	1 117 25                        ; attention_bwd.py:117:25 @[ attention_bwd.py:253:40 ]
	ds_read2st64_b64 v[226:229], v222 offset1:4
	ds_read2st64_b64 v[234:237], v223 offset1:4
	;; [unrolled: 1-line block ×4, first 2 shown]
	.loc	1 102 21                        ; attention_bwd.py:102:21 @[ attention_bwd.py:253:40 ]
	s_waitcnt lgkmcnt(0)
	s_barrier
	s_waitcnt vmcnt(15)
	ds_write_b16 v210, v252
	s_waitcnt vmcnt(13)
	ds_write_b16 v210, a4 offset:1024
	s_waitcnt vmcnt(11)
	ds_write_b16 v210, a6 offset:2048
	;; [unrolled: 2-line block ×3, first 2 shown]
	ds_write_b16 v211, v253 offset:512
	ds_write_b16 v211, a5 offset:1536
	;; [unrolled: 1-line block ×3, first 2 shown]
	s_waitcnt vmcnt(8)
	ds_write_b16 v211, a9 offset:3584
	.loc	1 103 21                        ; attention_bwd.py:103:21 @[ attention_bwd.py:253:40 ]
	s_waitcnt vmcnt(7)
	ds_write_b16 v210, v216 offset:4096
	s_waitcnt vmcnt(5)
	ds_write_b16 v210, v218 offset:5120
	;; [unrolled: 2-line block ×4, first 2 shown]
	ds_write_b16 v211, v217 offset:4608
	ds_write_b16 v211, v219 offset:5632
	;; [unrolled: 1-line block ×3, first 2 shown]
	s_waitcnt vmcnt(0)
	ds_write_b16 v211, v215 offset:7680
	.loc	1 104 23                        ; attention_bwd.py:104:23 @[ attention_bwd.py:253:40 ]
	v_mfma_f32_32x32x16_f16 v[32:47], v[230:233], v[172:175], v[32:47]
	.loc	1 117 25                        ; attention_bwd.py:117:25 @[ attention_bwd.py:253:40 ]
	v_mov_b32_e32 v232, v226
	v_mov_b32_e32 v233, v227
	;; [unrolled: 1-line block ×6, first 2 shown]
	.loc	1 112 24                        ; attention_bwd.py:112:24 @[ attention_bwd.py:253:40 ]
	v_mfma_f32_32x32x16_f16 v[48:63], a[0:3], v[188:191], v[48:63]
	.loc	1 105 30                        ; attention_bwd.py:105:30 @[ attention_bwd.py:253:40 ]
	s_nop 4
	v_sub_f32_e32 v164, v32, v170
	v_sub_f32_e32 v165, v33, v170
	;; [unrolled: 1-line block ×8, first 2 shown]
	.loc	1 113 23                        ; attention_bwd.py:113:23 @[ attention_bwd.py:253:40 ]
	v_pk_add_f32 v[32:33], v[48:49], v[114:115] neg_lo:[0,1] neg_hi:[0,1]
	v_pk_add_f32 v[34:35], v[50:51], v[114:115] neg_lo:[0,1] neg_hi:[0,1]
	;; [unrolled: 1-line block ×4, first 2 shown]
	.loc	1 105 25                        ; attention_bwd.py:105:25 @[ attention_bwd.py:253:40 ]
	v_exp_f32_e32 v48, v164
	v_exp_f32_e32 v49, v165
	;; [unrolled: 1-line block ×8, first 2 shown]
	.loc	1 113 18                        ; attention_bwd.py:113:18 @[ attention_bwd.py:253:40 ]
	v_pk_mul_f32 v[32:33], v[48:49], v[32:33]
	v_pk_mul_f32 v[34:35], v[50:51], v[34:35]
	;; [unrolled: 1-line block ×4, first 2 shown]
	.loc	1 114 19                        ; attention_bwd.py:114:19 @[ attention_bwd.py:253:40 ]
	v_cvt_pk_f16_f32 v32, v32, v33
	v_cvt_pk_f16_f32 v33, v34, v35
	;; [unrolled: 1-line block ×4, first 2 shown]
	.loc	1 105 30                        ; attention_bwd.py:105:30 @[ attention_bwd.py:253:40 ]
	v_sub_f32_e32 v205, v40, v170
	v_sub_f32_e32 v206, v41, v170
	.loc	1 117 25                        ; attention_bwd.py:117:25 @[ attention_bwd.py:253:40 ]
	v_mfma_f32_32x32x16_f16 v[0:15], v[232:235], v[32:35], v[0:15]
	.loc	1 105 30                        ; attention_bwd.py:105:30 @[ attention_bwd.py:253:40 ]
	v_sub_f32_e32 v207, v42, v170
	v_sub_f32_e32 v208, v43, v170
	;; [unrolled: 1-line block ×6, first 2 shown]
	.loc	1 113 23                        ; attention_bwd.py:113:23 @[ attention_bwd.py:253:40 ]
	v_pk_add_f32 v[40:41], v[56:57], v[114:115] neg_lo:[0,1] neg_hi:[0,1]
	.loc	1 105 25                        ; attention_bwd.py:105:25 @[ attention_bwd.py:253:40 ]
	v_exp_f32_e32 v56, v205
	v_exp_f32_e32 v57, v206
	;; [unrolled: 1-line block ×8, first 2 shown]
	.loc	1 113 23                        ; attention_bwd.py:113:23 @[ attention_bwd.py:253:40 ]
	v_pk_add_f32 v[42:43], v[58:59], v[114:115] neg_lo:[0,1] neg_hi:[0,1]
	v_pk_add_f32 v[44:45], v[60:61], v[114:115] neg_lo:[0,1] neg_hi:[0,1]
	;; [unrolled: 1-line block ×3, first 2 shown]
	.loc	1 117 25                        ; attention_bwd.py:117:25 @[ attention_bwd.py:253:40 ]
	v_mfma_f32_32x32x16_f16 v[16:31], v[228:231], v[32:35], v[16:31]
	.loc	1 113 18                        ; attention_bwd.py:113:18 @[ attention_bwd.py:253:40 ]
	v_mul_f32_e64 v40, v56, v40
	v_mul_f32_e64 v41, v57, v41
	;; [unrolled: 1-line block ×6, first 2 shown]
	v_pk_mul_f32 v[38:39], v[48:49], v[46:47]
	.loc	1 114 19                        ; attention_bwd.py:114:19 @[ attention_bwd.py:253:40 ]
	v_cvt_pk_f16_f32 v32, v40, v41
	v_cvt_pk_f16_f32 v33, v34, v35
	;; [unrolled: 1-line block ×4, first 2 shown]
	.loc	1 117 25                        ; attention_bwd.py:117:25 @[ attention_bwd.py:253:40 ]
	s_nop 1
	v_mfma_f32_32x32x16_f16 v[0:15], v[242:245], v[32:35], v[0:15]
	v_mov_b32_e32 v242, v246
	v_mov_b32_e32 v243, v247
	s_nop 1
	v_mfma_f32_32x32x16_f16 v[16:31], v[240:243], v[32:35], v[16:31]
	.loc	1 101 25                        ; attention_bwd.py:101:25 @[ attention_bwd.py:253:40 ]
	s_cbranch_scc1 .LBB0_97
	s_branch .LBB0_99
.LBB0_98:
	.loc	1 0 25 is_stmt 0                ; attention_bwd.py:0:25
	v_mov_b32_e32 v31, 0
	v_mov_b32_e32 v30, v31
	;; [unrolled: 1-line block ×32, first 2 shown]
.LBB0_99:                               ; %._crit_edge235
	.loc	1 104 23 is_stmt 1              ; attention_bwd.py:104:23 @[ attention_bwd.py:253:40 ]
	s_and_b64 vcc, exec, s[6:7]
	.loc	1 117 25                        ; attention_bwd.py:117:25 @[ attention_bwd.py:253:40 ]
	s_waitcnt lgkmcnt(0)
	s_barrier
	.loc	1 104 23                        ; attention_bwd.py:104:23 @[ attention_bwd.py:253:40 ]
	s_cbranch_vccnz .LBB0_101
; %bb.100:
	.loc	1 0 0 is_stmt 0                 ; attention_bwd.py:0 @[ attention_bwd.py:253:40 ]
	ds_read_b64_tr_b16 v[32:33], v221
	ds_read_b64_tr_b16 v[36:37], v221 offset:1024
	ds_read_b64_tr_b16 v[40:41], v221 offset:2048
	;; [unrolled: 1-line block ×3, first 2 shown]
	ds_read_b64_tr_b16 v[34:35], v220
	ds_read_b64_tr_b16 v[38:39], v220 offset:1024
	ds_read_b64_tr_b16 v[42:43], v220 offset:2048
	;; [unrolled: 1-line block ×11, first 2 shown]
	.loc	1 104 23                        ; attention_bwd.py:104:23 @[ attention_bwd.py:253:40 ]
	s_waitcnt lgkmcnt(11)
	v_mfma_f32_32x32x16_f16 v[48:63], v[32:35], v[180:183], 0
	.loc	1 117 25 is_stmt 1              ; attention_bwd.py:117:25 @[ attention_bwd.py:253:40 ]
	ds_read2st64_b64 v[118:121], v225 offset1:4
	ds_read2st64_b64 v[122:125], v224 offset1:4
	;; [unrolled: 1-line block ×4, first 2 shown]
	s_waitcnt lgkmcnt(2)
	v_mov_b32_e32 v116, v122
	v_mov_b32_e32 v117, v123
	s_waitcnt lgkmcnt(0)
	v_mov_b32_e32 v126, v152
	v_mov_b32_e32 v127, v153
	.loc	1 104 23                        ; attention_bwd.py:104:23 @[ attention_bwd.py:253:40 ]
	v_mfma_f32_32x32x16_f16 v[48:63], v[36:39], v[184:187], v[48:63]
	v_mfma_f32_32x32x16_f16 v[48:63], v[40:43], v[176:179], v[48:63]
	v_mfma_f32_32x32x16_f16 v[48:63], v[44:47], v[172:175], v[48:63]
	.loc	1 105 30                        ; attention_bwd.py:105:30 @[ attention_bwd.py:253:40 ]
	s_waitcnt vmcnt(1)
	s_nop 10
	v_sub_f32_e32 v32, v63, v170
	.loc	1 105 25 is_stmt 0              ; attention_bwd.py:105:25 @[ attention_bwd.py:253:40 ]
	v_exp_f32_e32 v63, v32
	.loc	1 105 30                        ; attention_bwd.py:105:30 @[ attention_bwd.py:253:40 ]
	v_sub_f32_e32 v32, v62, v170
	.loc	1 105 25                        ; attention_bwd.py:105:25 @[ attention_bwd.py:253:40 ]
	v_exp_f32_e32 v62, v32
	.loc	1 105 30                        ; attention_bwd.py:105:30 @[ attention_bwd.py:253:40 ]
	v_sub_f32_e32 v32, v61, v170
	.loc	1 105 25                        ; attention_bwd.py:105:25 @[ attention_bwd.py:253:40 ]
	;; [unrolled: 4-line block ×3, first 2 shown]
	v_exp_f32_e32 v60, v32
	.loc	1 112 24 is_stmt 1              ; attention_bwd.py:112:24 @[ attention_bwd.py:253:40 ]
	v_mfma_f32_32x32x16_f16 v[32:47], v[132:135], v[200:203], 0
	.loc	1 105 30                        ; attention_bwd.py:105:30 @[ attention_bwd.py:253:40 ]
	v_sub_f32_e32 v55, v55, v170
	v_sub_f32_e32 v54, v54, v170
	;; [unrolled: 1-line block ×7, first 2 shown]
	.loc	1 112 24                        ; attention_bwd.py:112:24 @[ attention_bwd.py:253:40 ]
	v_mfma_f32_32x32x16_f16 v[32:47], v[156:159], v[196:199], v[32:47]
	.loc	1 105 30                        ; attention_bwd.py:105:30 @[ attention_bwd.py:253:40 ]
	v_sub_f32_e32 v48, v48, v170
	.loc	1 105 25 is_stmt 0              ; attention_bwd.py:105:25 @[ attention_bwd.py:253:40 ]
	v_exp_f32_e32 v55, v55
	v_exp_f32_e32 v54, v54
	;; [unrolled: 1-line block ×6, first 2 shown]
	.loc	1 112 24 is_stmt 1              ; attention_bwd.py:112:24 @[ attention_bwd.py:253:40 ]
	v_mfma_f32_32x32x16_f16 v[32:47], v[160:163], v[192:195], v[32:47]
	.loc	1 105 25                        ; attention_bwd.py:105:25 @[ attention_bwd.py:253:40 ]
	v_exp_f32_e32 v49, v49
	v_exp_f32_e32 v48, v48
	.loc	1 117 25                        ; attention_bwd.py:117:25 @[ attention_bwd.py:253:40 ]
	v_mov_b32_e32 v156, v130
	v_mov_b32_e32 v157, v131
	.loc	1 105 30                        ; attention_bwd.py:105:30 @[ attention_bwd.py:253:40 ]
	v_sub_f32_e32 v59, v59, v170
	v_sub_f32_e32 v58, v58, v170
	.loc	1 105 25 is_stmt 0              ; attention_bwd.py:105:25 @[ attention_bwd.py:253:40 ]
	v_exp_f32_e32 v59, v59
	.loc	1 112 24 is_stmt 1              ; attention_bwd.py:112:24 @[ attention_bwd.py:253:40 ]
	v_mfma_f32_32x32x16_f16 v[32:47], v[164:167], v[188:191], v[32:47]
	.loc	1 105 25                        ; attention_bwd.py:105:25 @[ attention_bwd.py:253:40 ]
	v_exp_f32_e32 v58, v58
	.loc	1 105 30 is_stmt 0              ; attention_bwd.py:105:30 @[ attention_bwd.py:253:40 ]
	v_sub_f32_e32 v57, v57, v170
	v_sub_f32_e32 v56, v56, v170
	.loc	1 105 25                        ; attention_bwd.py:105:25 @[ attention_bwd.py:253:40 ]
	v_exp_f32_e32 v57, v57
	v_exp_f32_e32 v56, v56
	.loc	1 113 23 is_stmt 1              ; attention_bwd.py:113:23 @[ attention_bwd.py:253:40 ]
	s_waitcnt vmcnt(0)
	s_nop 5
	v_pk_add_f32 v[38:39], v[38:39], v[114:115] op_sel_hi:[1,0] neg_lo:[0,1] neg_hi:[0,1]
	v_pk_add_f32 v[36:37], v[36:37], v[114:115] op_sel_hi:[1,0] neg_lo:[0,1] neg_hi:[0,1]
	;; [unrolled: 1-line block ×4, first 2 shown]
	.loc	1 113 18 is_stmt 0              ; attention_bwd.py:113:18 @[ attention_bwd.py:253:40 ]
	v_pk_mul_f32 v[38:39], v[38:39], v[54:55]
	v_pk_mul_f32 v[36:37], v[36:37], v[52:53]
	;; [unrolled: 1-line block ×4, first 2 shown]
	.loc	1 114 19 is_stmt 1              ; attention_bwd.py:114:19 @[ attention_bwd.py:253:40 ]
	v_cvt_pk_f16_f32 v39, v38, v39
	v_cvt_pk_f16_f32 v38, v36, v37
	;; [unrolled: 1-line block ×4, first 2 shown]
	.loc	1 113 23                        ; attention_bwd.py:113:23 @[ attention_bwd.py:253:40 ]
	v_pk_add_f32 v[46:47], v[46:47], v[114:115] op_sel_hi:[1,0] neg_lo:[0,1] neg_hi:[0,1]
	v_pk_add_f32 v[44:45], v[44:45], v[114:115] op_sel_hi:[1,0] neg_lo:[0,1] neg_hi:[0,1]
	.loc	1 117 25                        ; attention_bwd.py:117:25 @[ attention_bwd.py:253:40 ]
	v_mfma_f32_32x32x16_f16 v[0:15], v[126:129], v[36:39], v[0:15]
	.loc	1 113 23                        ; attention_bwd.py:113:23 @[ attention_bwd.py:253:40 ]
	v_add_f32_e64 v42, v42, -v114
	v_add_f32_e64 v43, v43, -v114
	.loc	1 117 25                        ; attention_bwd.py:117:25 @[ attention_bwd.py:253:40 ]
	v_mov_b32_e32 v126, v120
	v_mov_b32_e32 v127, v121
	.loc	1 113 18                        ; attention_bwd.py:113:18 @[ attention_bwd.py:253:40 ]
	v_mul_f32_e64 v46, v46, v62
	v_mul_f32_e64 v47, v47, v63
	v_pk_mul_f32 v[44:45], v[44:45], v[60:61]
	v_pk_mul_f32 v[32:33], v[42:43], v[58:59]
	.loc	1 114 19                        ; attention_bwd.py:114:19 @[ attention_bwd.py:253:40 ]
	v_cvt_pk_f16_f32 v47, v46, v47
	.loc	1 117 25                        ; attention_bwd.py:117:25 @[ attention_bwd.py:253:40 ]
	v_mfma_f32_32x32x16_f16 v[16:31], v[154:157], v[36:39], v[16:31]
	.loc	1 114 19                        ; attention_bwd.py:114:19 @[ attention_bwd.py:253:40 ]
	v_cvt_pk_f16_f32 v46, v44, v45
	v_cvt_pk_f16_f32 v45, v32, v33
	.loc	1 113 23                        ; attention_bwd.py:113:23 @[ attention_bwd.py:253:40 ]
	v_add_f32_e64 v32, v40, -v114
	v_add_f32_e64 v33, v41, -v114
	.loc	1 113 18 is_stmt 0              ; attention_bwd.py:113:18 @[ attention_bwd.py:253:40 ]
	v_mul_f32_e64 v32, v32, v56
	v_mul_f32_e64 v33, v33, v57
	.loc	1 114 19 is_stmt 1              ; attention_bwd.py:114:19 @[ attention_bwd.py:253:40 ]
	v_cvt_pk_f16_f32 v44, v32, v33
	.loc	1 117 25                        ; attention_bwd.py:117:25 @[ attention_bwd.py:253:40 ]
	s_nop 1
	v_mfma_f32_32x32x16_f16 v[0:15], v[116:119], v[44:47], v[0:15]
	v_mfma_f32_32x32x16_f16 v[16:31], v[124:127], v[44:47], v[16:31]
.Ltmp24:
.LBB0_101:                              ; %.critedge
	.loc	1 0 25 is_stmt 0                ; attention_bwd.py:0:25
	v_readlane_b32 s0, v254, 2
	v_readlane_b32 s1, v254, 3
	.loc	1 152 10 is_stmt 1              ; attention_bwd.py:152:10
	s_add_u32 s0, s0, s34
	s_addc_u32 s1, s1, s35
	.loc	1 257 19                        ; attention_bwd.py:257:19
	v_lshl_add_u64 v[32:33], v[66:67], 1, s[0:1]
	s_mov_b32 s0, 0x3f317218
	.loc	1 258 10                        ; attention_bwd.py:258:10
	s_nop 4
	v_pk_mul_f32 v[0:1], v[0:1], s[0:1] op_sel_hi:[1,0]
	v_pk_mul_f32 v[2:3], v[2:3], s[0:1] op_sel_hi:[1,0]
	;; [unrolled: 1-line block ×16, first 2 shown]
	.loc	1 259 22                        ; attention_bwd.py:259:22
	v_cvt_pk_f16_f32 v0, v0, v1
	v_cvt_pk_f16_f32 v1, v2, v3
	;; [unrolled: 1-line block ×3, first 2 shown]
	.loc	1 257 50                        ; attention_bwd.py:257:50
	v_lshl_add_u64 v[34:35], v[64:65], 1, v[32:33]
	.loc	1 259 22                        ; attention_bwd.py:259:22
	v_cvt_pk_f16_f32 v3, v6, v7
	v_cvt_pk_f16_f32 v4, v8, v9
	v_cvt_pk_f16_f32 v5, v10, v11
	v_cvt_pk_f16_f32 v6, v12, v13
	v_cvt_pk_f16_f32 v7, v14, v15
	v_cvt_pk_f16_f32 v8, v16, v17
	v_cvt_pk_f16_f32 v9, v18, v19
	v_cvt_pk_f16_f32 v10, v20, v21
	v_cvt_pk_f16_f32 v11, v22, v23
	v_cvt_pk_f16_f32 v12, v24, v25
	v_cvt_pk_f16_f32 v13, v26, v27
	v_cvt_pk_f16_f32 v14, v28, v29
	v_cvt_pk_f16_f32 v15, v30, v31
	v_permlane32_swap_b32_e32 v0, v2
	.loc	1 257 50                        ; attention_bwd.py:257:50
	v_lshl_add_u64 v[36:37], v[68:69], 1, v[32:33]
	v_lshl_add_u64 v[38:39], v[70:71], 1, v[32:33]
	;; [unrolled: 1-line block ×31, first 2 shown]
	.loc	1 259 22                        ; attention_bwd.py:259:22
	v_permlane32_swap_b32_e32 v1, v3
	v_permlane32_swap_b32_e32 v4, v6
	;; [unrolled: 1-line block ×7, first 2 shown]
	global_store_short v[34:35], v0, off
	global_store_short_d16_hi v[36:37], v0, off
	global_store_short v[38:39], v1, off
	global_store_short_d16_hi v[40:41], v1, off
	;; [unrolled: 2-line block ×16, first 2 shown]
	.loc	1 259 4 is_stmt 0               ; attention_bwd.py:259:4
	s_endpgm
.Ltmp25:
	.section	.rodata,"a",@progbits
	.p2align	6, 0x0
	.amdhsa_kernel _attn_bwd
		.amdhsa_group_segment_fixed_size 0
		.amdhsa_private_segment_fixed_size 0
		.amdhsa_kernarg_size 120
		.amdhsa_user_sgpr_count 16
		.amdhsa_user_sgpr_dispatch_ptr 0
		.amdhsa_user_sgpr_queue_ptr 0
		.amdhsa_user_sgpr_kernarg_segment_ptr 1
		.amdhsa_user_sgpr_dispatch_id 0
		.amdhsa_user_sgpr_kernarg_preload_length 14
		.amdhsa_user_sgpr_kernarg_preload_offset 0
		.amdhsa_user_sgpr_private_segment_size 0
		.amdhsa_uses_dynamic_stack 0
		.amdhsa_enable_private_segment 0
		.amdhsa_system_sgpr_workgroup_id_x 1
		.amdhsa_system_sgpr_workgroup_id_y 0
		.amdhsa_system_sgpr_workgroup_id_z 1
		.amdhsa_system_sgpr_workgroup_info 0
		.amdhsa_system_vgpr_workitem_id 0
		.amdhsa_next_free_vgpr 316
		.amdhsa_next_free_sgpr 100
		.amdhsa_accum_offset 256
		.amdhsa_reserve_vcc 1
		.amdhsa_reserve_xnack_mask 1
		.amdhsa_float_round_mode_32 0
		.amdhsa_float_round_mode_16_64 0
		.amdhsa_float_denorm_mode_32 3
		.amdhsa_float_denorm_mode_16_64 3
		.amdhsa_dx10_clamp 1
		.amdhsa_ieee_mode 1
		.amdhsa_fp16_overflow 0
		.amdhsa_tg_split 0
		.amdhsa_exception_fp_ieee_invalid_op 0
		.amdhsa_exception_fp_denorm_src 0
		.amdhsa_exception_fp_ieee_div_zero 0
		.amdhsa_exception_fp_ieee_overflow 0
		.amdhsa_exception_fp_ieee_underflow 0
		.amdhsa_exception_fp_ieee_inexact 0
		.amdhsa_exception_int_div_zero 0
	.end_amdhsa_kernel
	.text
.Lfunc_end0:
	.size	_attn_bwd, .Lfunc_end0-_attn_bwd
	.cfi_endproc
                                        ; -- End function
	.set _attn_bwd.num_vgpr, 256
	.set _attn_bwd.num_agpr, 60
	.set _attn_bwd.numbered_sgpr, 100
	.set _attn_bwd.num_named_barrier, 0
	.set _attn_bwd.private_seg_size, 0
	.set _attn_bwd.uses_vcc, 1
	.set _attn_bwd.uses_flat_scratch, 0
	.set _attn_bwd.has_dyn_sized_stack, 0
	.set _attn_bwd.has_recursion, 0
	.set _attn_bwd.has_indirect_call, 0
	.section	.AMDGPU.csdata,"",@progbits
; Kernel info:
; codeLenInByte = 20472
; TotalNumSgprs: 106
; NumVgprs: 256
; NumAgprs: 60
; TotalNumVgprs: 316
; ScratchSize: 0
; MemoryBound: 0
; FloatMode: 240
; IeeeMode: 1
; LDSByteSize: 0 bytes/workgroup (compile time only)
; SGPRBlocks: 13
; VGPRBlocks: 39
; NumSGPRsForWavesPerEU: 106
; NumVGPRsForWavesPerEU: 316
; AccumOffset: 256
; Occupancy: 1
; WaveLimiterHint : 0
; COMPUTE_PGM_RSRC2:SCRATCH_EN: 0
; COMPUTE_PGM_RSRC2:USER_SGPR: 16
; COMPUTE_PGM_RSRC2:TRAP_HANDLER: 0
; COMPUTE_PGM_RSRC2:TGID_X_EN: 1
; COMPUTE_PGM_RSRC2:TGID_Y_EN: 0
; COMPUTE_PGM_RSRC2:TGID_Z_EN: 1
; COMPUTE_PGM_RSRC2:TIDIG_COMP_CNT: 0
; COMPUTE_PGM_RSRC3_GFX90A:ACCUM_OFFSET: 63
; COMPUTE_PGM_RSRC3_GFX90A:TG_SPLIT: 0
	.text
	.p2alignl 6, 3212836864
	.fill 256, 4, 3212836864
	.section	.AMDGPU.gpr_maximums,"",@progbits
	.set amdgpu.max_num_vgpr, 0
	.set amdgpu.max_num_agpr, 0
	.set amdgpu.max_num_sgpr, 0
	.set amdgpu.max_num_named_barrier, 0
	.text
	.section	.debug_abbrev,"",@progbits
	.byte	1                               ; Abbreviation Code
	.byte	17                              ; DW_TAG_compile_unit
	.byte	1                               ; DW_CHILDREN_yes
	.byte	37                              ; DW_AT_producer
	.byte	14                              ; DW_FORM_strp
	.byte	19                              ; DW_AT_language
	.byte	5                               ; DW_FORM_data2
	.byte	3                               ; DW_AT_name
	.byte	14                              ; DW_FORM_strp
	.byte	16                              ; DW_AT_stmt_list
	.byte	23                              ; DW_FORM_sec_offset
	.byte	27                              ; DW_AT_comp_dir
	.byte	14                              ; DW_FORM_strp
	.byte	17                              ; DW_AT_low_pc
	.byte	1                               ; DW_FORM_addr
	.byte	18                              ; DW_AT_high_pc
	.byte	6                               ; DW_FORM_data4
	.byte	0                               ; EOM(1)
	.byte	0                               ; EOM(2)
	.byte	2                               ; Abbreviation Code
	.byte	46                              ; DW_TAG_subprogram
	.byte	0                               ; DW_CHILDREN_no
	.byte	3                               ; DW_AT_name
	.byte	14                              ; DW_FORM_strp
	.byte	32                              ; DW_AT_inline
	.byte	11                              ; DW_FORM_data1
	.byte	0                               ; EOM(1)
	.byte	0                               ; EOM(2)
	.byte	3                               ; Abbreviation Code
	.byte	46                              ; DW_TAG_subprogram
	.byte	1                               ; DW_CHILDREN_yes
	.byte	17                              ; DW_AT_low_pc
	.byte	1                               ; DW_FORM_addr
	.byte	18                              ; DW_AT_high_pc
	.byte	6                               ; DW_FORM_data4
	.byte	49                              ; DW_AT_abstract_origin
	.byte	19                              ; DW_FORM_ref4
	.byte	0                               ; EOM(1)
	.byte	0                               ; EOM(2)
	.byte	4                               ; Abbreviation Code
	.byte	29                              ; DW_TAG_inlined_subroutine
	.byte	0                               ; DW_CHILDREN_no
	.byte	49                              ; DW_AT_abstract_origin
	.byte	19                              ; DW_FORM_ref4
	.byte	85                              ; DW_AT_ranges
	.byte	23                              ; DW_FORM_sec_offset
	.byte	88                              ; DW_AT_call_file
	.byte	11                              ; DW_FORM_data1
	.byte	89                              ; DW_AT_call_line
	.byte	11                              ; DW_FORM_data1
	.byte	87                              ; DW_AT_call_column
	.byte	11                              ; DW_FORM_data1
	.byte	0                               ; EOM(1)
	.byte	0                               ; EOM(2)
	;; [unrolled: 1-line block ×3, first 2 shown]
	.section	.debug_info,"",@progbits
.Lcu_begin0:
	.long	.Ldebug_info_end0-.Ldebug_info_start0 ; Length of Unit
.Ldebug_info_start0:
	.short	4                               ; DWARF version number
	.long	.debug_abbrev                   ; Offset Into Abbrev. Section
	.byte	8                               ; Address Size (in bytes)
	.byte	1                               ; Abbrev [1] 0xb:0x50 DW_TAG_compile_unit
	.long	.Linfo_string0                  ; DW_AT_producer
	.short	2                               ; DW_AT_language
	.long	.Linfo_string1                  ; DW_AT_name
	.long	.Lline_table_start0             ; DW_AT_stmt_list
	.long	.Linfo_string2                  ; DW_AT_comp_dir
	.quad	.Lfunc_begin0                   ; DW_AT_low_pc
	.long	.Lfunc_end0-.Lfunc_begin0       ; DW_AT_high_pc
	.byte	2                               ; Abbrev [2] 0x2a:0x6 DW_TAG_subprogram
	.long	.Linfo_string3                  ; DW_AT_name
	.byte	1                               ; DW_AT_inline
	.byte	3                               ; Abbrev [3] 0x30:0x2a DW_TAG_subprogram
	.quad	.Lfunc_begin0                   ; DW_AT_low_pc
	.long	.Lfunc_end0-.Lfunc_begin0       ; DW_AT_high_pc
	.long	42                              ; DW_AT_abstract_origin
	.byte	4                               ; Abbrev [4] 0x41:0xc DW_TAG_inlined_subroutine
	.long	42                              ; DW_AT_abstract_origin
	.long	.Ldebug_ranges0                 ; DW_AT_ranges
	.byte	1                               ; DW_AT_call_file
	.byte	253                             ; DW_AT_call_line
	.byte	40                              ; DW_AT_call_column
	.byte	4                               ; Abbrev [4] 0x4d:0xc DW_TAG_inlined_subroutine
	.long	42                              ; DW_AT_abstract_origin
	.long	.Ldebug_ranges1                 ; DW_AT_ranges
	.byte	1                               ; DW_AT_call_file
	.byte	200                             ; DW_AT_call_line
	.byte	26                              ; DW_AT_call_column
	.byte	0                               ; End Of Children Mark
	.byte	0                               ; End Of Children Mark
.Ldebug_info_end0:
	.section	.debug_ranges,"",@progbits
.Ldebug_ranges0:
	.quad	.Ltmp1-.Lfunc_begin0
	.quad	.Ltmp2-.Lfunc_begin0
	;; [unrolled: 1-line block ×6, first 2 shown]
	.quad	0
	.quad	0
.Ldebug_ranges1:
	.quad	.Ltmp3-.Lfunc_begin0
	.quad	.Ltmp4-.Lfunc_begin0
	;; [unrolled: 1-line block ×18, first 2 shown]
	.quad	0
	.quad	0
	.section	.debug_str,"MS",@progbits,1
.Linfo_string0:
	.asciz	"triton"                        ; string offset=0
.Linfo_string1:
	.asciz	"attention_bwd.py"              ; string offset=7
.Linfo_string2:
	.asciz	"/root/src/amdgpu-assembly/repos/triton-lang__triton-aot" ; string offset=24
.Linfo_string3:
	.asciz	"_attn_bwd"                     ; string offset=80
	.section	".note.GNU-stack","",@progbits
	.amdgpu_metadata
---
amdhsa.kernels:
  - .agpr_count:     60
    .args:
      - .address_space:  global
        .offset:         0
        .size:           8
        .value_kind:     global_buffer
      - .address_space:  global
        .offset:         8
        .size:           8
        .value_kind:     global_buffer
      - .address_space:  global
        .offset:         16
        .size:           8
        .value_kind:     global_buffer
      - .offset:         24
        .size:           4
        .value_kind:     by_value
      - .address_space:  global
        .offset:         32
        .size:           8
        .value_kind:     global_buffer
      - .address_space:  global
        .offset:         40
        .size:           8
        .value_kind:     global_buffer
      - .address_space:  global
        .offset:         48
        .size:           8
        .value_kind:     global_buffer
      - .address_space:  global
        .offset:         56
        .size:           8
        .value_kind:     global_buffer
      - .address_space:  global
        .offset:         64
        .size:           8
        .value_kind:     global_buffer
      - .address_space:  global
        .offset:         72
        .size:           8
        .value_kind:     global_buffer
      - .offset:         80
        .size:           4
        .value_kind:     by_value
      - .offset:         84
        .size:           4
        .value_kind:     by_value
      - .offset:         88
        .size:           4
        .value_kind:     by_value
      - .offset:         92
        .size:           4
        .value_kind:     by_value
      - .offset:         96
        .size:           4
        .value_kind:     by_value
      - .offset:         100
        .size:           4
        .value_kind:     by_value
      - .address_space:  global
        .offset:         104
        .size:           8
        .value_kind:     global_buffer
      - .address_space:  global
        .offset:         112
        .size:           8
        .value_kind:     global_buffer
    .group_segment_fixed_size: 0
    .kernarg_segment_align: 8
    .kernarg_segment_size: 120
    .max_flat_workgroup_size: 256
    .name:           _attn_bwd
    .private_segment_fixed_size: 0
    .sgpr_count:     106
    .sgpr_spill_count: 75
    .symbol:         _attn_bwd.kd
    .uniform_work_group_size: 1
    .uses_dynamic_stack: false
    .vgpr_count:     316
    .vgpr_spill_count: 0
    .wavefront_size: 64
amdhsa.target:   amdgcn-amd-amdhsa--gfx950
amdhsa.version:
  - 1
  - 2
...

	.end_amdgpu_metadata
	.section	.debug_line,"",@progbits
.Lline_table_start0:
